;; amdgpu-corpus repo=ROCm/rocFFT kind=compiled arch=gfx1030 opt=O3
	.text
	.amdgcn_target "amdgcn-amd-amdhsa--gfx1030"
	.amdhsa_code_object_version 6
	.protected	bluestein_single_back_len1352_dim1_sp_op_CI_CI ; -- Begin function bluestein_single_back_len1352_dim1_sp_op_CI_CI
	.globl	bluestein_single_back_len1352_dim1_sp_op_CI_CI
	.p2align	8
	.type	bluestein_single_back_len1352_dim1_sp_op_CI_CI,@function
bluestein_single_back_len1352_dim1_sp_op_CI_CI: ; @bluestein_single_back_len1352_dim1_sp_op_CI_CI
; %bb.0:
	s_load_dwordx4 s[12:15], s[4:5], 0x28
	v_mul_u32_u24_e32 v1, 0x4ed, v0
	s_mov_b64 s[18:19], s[2:3]
	s_mov_b64 s[16:17], s[0:1]
	v_mov_b32_e32 v4, 0
	s_add_u32 s16, s16, s7
	v_lshrrev_b32_e32 v1, 16, v1
	s_addc_u32 s17, s17, 0
	s_mov_b32 s0, exec_lo
	v_add_nc_u32_e32 v3, s6, v1
	s_waitcnt lgkmcnt(0)
	v_cmpx_gt_u64_e64 s[12:13], v[3:4]
	s_cbranch_execz .LBB0_10
; %bb.1:
	s_clause 0x2
	s_load_dwordx4 s[8:11], s[4:5], 0x0
	s_load_dwordx4 s[0:3], s[4:5], 0x18
	s_load_dwordx2 s[12:13], s[4:5], 0x38
	v_mul_lo_u16 v1, v1, 52
	v_mov_b32_e32 v2, v3
	s_waitcnt lgkmcnt(0)
	s_load_dwordx4 s[4:7], s[2:3], 0x0
	s_load_dwordx4 s[0:3], s[0:1], 0x0
	v_sub_nc_u16 v121, v0, v1
                                        ; kill: def $vgpr4 killed $sgpr0 killed $exec
	s_waitcnt lgkmcnt(0)
	v_mad_u64_u32 v[0:1], null, s2, v3, 0
	buffer_store_dword v2, off, s[16:19], 0 ; 4-byte Folded Spill
	buffer_store_dword v3, off, s[16:19], 0 offset:4 ; 4-byte Folded Spill
	v_and_b32_e32 v136, 0xffff, v121
	v_lshlrev_b32_e32 v199, 3, v136
	v_add_co_u32 v76, null, v136, 52
	v_and_b32_e32 v79, 1, v136
	v_lshlrev_b32_e32 v196, 4, v136
	global_load_dwordx2 v[5:6], v199, s[8:9]
	v_add_co_u32 v8, s2, s8, v199
	v_add_co_ci_u32_e64 v9, null, s9, 0, s2
	s_mul_i32 s2, s1, 0x1520
	v_add_nc_u32_e32 v77, 0x1400, v199
	v_add_nc_u32_e32 v181, 0x1800, v199
	;; [unrolled: 1-line block ×7, first 2 shown]
	v_lshlrev_b32_e32 v254, 4, v76
	v_add_co_u32 v197, null, 0xffffffe6, v136
	v_mad_u64_u32 v[1:2], null, s3, v3, v[1:2]
	v_mad_u64_u32 v[2:3], null, s0, v136, 0
	s_mul_hi_u32 s3, s0, 0x1520
	s_add_i32 s2, s3, s2
	s_mul_i32 s3, s0, 0x1520
	v_lshlrev_b64 v[0:1], 3, v[0:1]
	v_mad_u64_u32 v[3:4], null, s1, v136, v[3:4]
	v_add_co_u32 v16, vcc_lo, s14, v0
	v_add_co_ci_u32_e32 v17, vcc_lo, s15, v1, vcc_lo
	v_lshlrev_b64 v[0:1], 3, v[2:3]
	s_mul_hi_u32 s15, s0, 0xffffec80
	s_mul_i32 s14, s1, 0xffffec80
	s_sub_i32 s15, s15, s0
	s_add_i32 s14, s15, s14
	v_add_co_u32 v0, vcc_lo, v16, v0
	v_add_co_ci_u32_e32 v1, vcc_lo, v17, v1, vcc_lo
	s_mul_i32 s15, s0, 0xffffec80
	global_load_dwordx2 v[2:3], v[0:1], off
	s_waitcnt vmcnt(0)
	v_mul_f32_e32 v4, v3, v6
	v_fmac_f32_e32 v4, v2, v5
	v_mul_f32_e32 v2, v2, v6
	buffer_store_dword v5, off, s[16:19], 0 offset:20 ; 4-byte Folded Spill
	buffer_store_dword v6, off, s[16:19], 0 offset:24 ; 4-byte Folded Spill
	v_fma_f32 v5, v3, v5, -v2
	v_add_co_u32 v2, vcc_lo, v0, s3
	v_add_co_ci_u32_e32 v3, vcc_lo, s2, v1, vcc_lo
	v_add_co_u32 v0, vcc_lo, 0x1000, v8
	v_add_co_ci_u32_e32 v1, vcc_lo, 0, v9, vcc_lo
	global_load_dwordx2 v[6:7], v[2:3], off
	v_add_co_u32 v2, vcc_lo, v2, s15
	global_load_dwordx2 v[137:138], v[0:1], off offset:1312
	v_add_co_ci_u32_e32 v3, vcc_lo, s14, v3, vcc_lo
	s_waitcnt vmcnt(0)
	v_mul_f32_e32 v10, v7, v138
	v_fmac_f32_e32 v10, v6, v137
	v_mul_f32_e32 v6, v6, v138
	v_fma_f32 v11, v7, v137, -v6
	ds_write_b64 v199, v[10:11] offset:5408
	global_load_dwordx2 v[6:7], v[2:3], off
	global_load_dwordx2 v[200:201], v199, s[8:9] offset:416
	v_add_co_u32 v2, vcc_lo, v2, s3
	v_add_co_ci_u32_e32 v3, vcc_lo, s2, v3, vcc_lo
	s_waitcnt vmcnt(0)
	v_mul_f32_e32 v10, v7, v201
	v_fmac_f32_e32 v10, v6, v200
	v_mul_f32_e32 v6, v6, v201
	v_fma_f32 v11, v7, v200, -v6
	ds_write2_b64 v199, v[4:5], v[10:11] offset1:52
	global_load_dwordx2 v[4:5], v[2:3], off
	global_load_dwordx2 v[10:11], v[0:1], off offset:1728
	v_add_co_u32 v2, vcc_lo, v2, s15
	v_add_co_ci_u32_e32 v3, vcc_lo, s14, v3, vcc_lo
	s_waitcnt vmcnt(0)
	v_mul_f32_e32 v6, v5, v11
	v_fmac_f32_e32 v6, v4, v10
	v_mul_f32_e32 v4, v4, v11
	buffer_store_dword v10, off, s[16:19], 0 offset:28 ; 4-byte Folded Spill
	buffer_store_dword v11, off, s[16:19], 0 offset:32 ; 4-byte Folded Spill
	v_fma_f32 v7, v5, v10, -v4
	global_load_dwordx2 v[4:5], v[2:3], off
	global_load_dwordx2 v[139:140], v199, s[8:9] offset:832
	s_waitcnt vmcnt(0)
	v_mul_f32_e32 v10, v5, v140
	v_fmac_f32_e32 v10, v4, v139
	v_mul_f32_e32 v4, v4, v140
	v_fma_f32 v11, v5, v139, -v4
	v_add_co_u32 v4, vcc_lo, v2, s3
	v_add_co_ci_u32_e32 v5, vcc_lo, s2, v3, vcc_lo
	v_add_co_u32 v2, vcc_lo, 0x1800, v8
	v_add_co_ci_u32_e32 v3, vcc_lo, 0, v9, vcc_lo
	global_load_dwordx2 v[12:13], v[4:5], off
	v_add_co_u32 v4, vcc_lo, v4, s15
	global_load_dwordx2 v[18:19], v[2:3], off offset:96
	v_add_co_ci_u32_e32 v5, vcc_lo, s14, v5, vcc_lo
	s_waitcnt vmcnt(0)
	v_mul_f32_e32 v14, v13, v19
	v_fmac_f32_e32 v14, v12, v18
	v_mul_f32_e32 v12, v12, v19
	buffer_store_dword v18, off, s[16:19], 0 offset:12 ; 4-byte Folded Spill
	buffer_store_dword v19, off, s[16:19], 0 offset:16 ; 4-byte Folded Spill
	v_fma_f32 v15, v13, v18, -v12
	ds_write2_b64 v77, v[6:7], v[14:15] offset0:88 offset1:140
	global_load_dwordx2 v[6:7], v[4:5], off
	global_load_dwordx2 v[141:142], v199, s[8:9] offset:1248
	v_mad_u64_u32 v[4:5], null, 0x1a0, s0, v[4:5]
	s_waitcnt vmcnt(0)
	v_mul_f32_e32 v12, v7, v142
	v_fmac_f32_e32 v12, v6, v141
	v_mul_f32_e32 v6, v6, v142
	v_fma_f32 v13, v7, v141, -v6
	ds_write2_b64 v199, v[10:11], v[12:13] offset0:104 offset1:156
	v_or_b32_e32 v12, 0x340, v136
	v_mad_u64_u32 v[6:7], null, s0, v12, 0
	v_lshlrev_b32_e32 v193, 3, v12
	buffer_store_dword v12, off, s[16:19], 0 offset:36 ; 4-byte Folded Spill
	global_load_dwordx2 v[161:162], v193, s[8:9]
	v_mad_u64_u32 v[10:11], null, s1, v12, v[7:8]
	v_mov_b32_e32 v7, v10
	v_lshlrev_b64 v[6:7], 3, v[6:7]
	v_add_co_u32 v6, vcc_lo, v16, v6
	v_add_co_ci_u32_e32 v7, vcc_lo, v17, v7, vcc_lo
	global_load_dwordx2 v[6:7], v[6:7], off
	s_waitcnt vmcnt(0)
	v_mul_f32_e32 v10, v7, v162
	v_fmac_f32_e32 v10, v6, v161
	v_mul_f32_e32 v6, v6, v162
	v_fma_f32 v11, v7, v161, -v6
                                        ; kill: def $vgpr6 killed $sgpr0 killed $exec
	v_mad_u64_u32 v[5:6], null, 0x1a0, s1, v[5:6]
	global_load_dwordx2 v[6:7], v[4:5], off
	global_load_dwordx2 v[173:174], v199, s[8:9] offset:1664
	v_add_co_u32 v4, vcc_lo, v4, s3
	v_add_co_ci_u32_e32 v5, vcc_lo, s2, v5, vcc_lo
	s_waitcnt vmcnt(0)
	v_mul_f32_e32 v12, v7, v174
	v_fmac_f32_e32 v12, v6, v173
	v_mul_f32_e32 v6, v6, v174
	v_fma_f32 v13, v7, v173, -v6
	global_load_dwordx2 v[6:7], v[4:5], off
	global_load_dwordx2 v[165:166], v[2:3], off offset:928
	v_add_co_u32 v4, vcc_lo, v4, s15
	v_add_co_ci_u32_e32 v5, vcc_lo, s14, v5, vcc_lo
	s_waitcnt vmcnt(0)
	v_mul_f32_e32 v14, v7, v166
	v_fmac_f32_e32 v14, v6, v165
	v_mul_f32_e32 v6, v6, v166
	v_fma_f32 v15, v7, v165, -v6
	global_load_dwordx2 v[6:7], v[4:5], off
	ds_write2_b64 v181, v[10:11], v[14:15] offset0:64 offset1:116
	v_add_co_u32 v10, vcc_lo, 0x800, v8
	v_add_co_ci_u32_e32 v11, vcc_lo, 0, v9, vcc_lo
	v_add_co_u32 v4, vcc_lo, v4, s3
	v_add_co_ci_u32_e32 v5, vcc_lo, s2, v5, vcc_lo
	global_load_dwordx2 v[175:176], v[10:11], off offset:32
	s_waitcnt vmcnt(0)
	v_mul_f32_e32 v14, v7, v176
	v_fmac_f32_e32 v14, v6, v175
	v_mul_f32_e32 v6, v6, v176
	v_fma_f32 v15, v7, v175, -v6
	ds_write2_b64 v182, v[12:13], v[14:15] offset0:80 offset1:132
	global_load_dwordx2 v[6:7], v[4:5], off
	global_load_dwordx2 v[167:168], v[2:3], off offset:1344
	v_add_co_u32 v4, vcc_lo, v4, s15
	v_add_co_ci_u32_e32 v5, vcc_lo, s14, v5, vcc_lo
	s_waitcnt vmcnt(0)
	v_mul_f32_e32 v12, v7, v168
	v_fmac_f32_e32 v12, v6, v167
	v_mul_f32_e32 v6, v6, v168
	v_fma_f32 v13, v7, v167, -v6
	global_load_dwordx2 v[6:7], v[4:5], off
	global_load_dwordx2 v[171:172], v[10:11], off offset:448
	v_add_co_u32 v4, vcc_lo, v4, s3
	v_add_co_ci_u32_e32 v5, vcc_lo, s2, v5, vcc_lo
	s_waitcnt vmcnt(0)
	v_mul_f32_e32 v14, v7, v172
	v_fmac_f32_e32 v14, v6, v171
	v_mul_f32_e32 v6, v6, v172
	v_fma_f32 v15, v7, v171, -v6
	global_load_dwordx2 v[6:7], v[4:5], off
	global_load_dwordx2 v[169:170], v[2:3], off offset:1760
	s_waitcnt vmcnt(0)
	v_mul_f32_e32 v2, v7, v170
	v_mul_f32_e32 v3, v6, v170
	v_fmac_f32_e32 v2, v6, v169
	v_fma_f32 v3, v7, v169, -v3
	ds_write2_b64 v181, v[12:13], v[2:3] offset0:168 offset1:220
	v_add_co_u32 v2, vcc_lo, v4, s15
	v_add_co_ci_u32_e32 v3, vcc_lo, s14, v5, vcc_lo
	global_load_dwordx2 v[4:5], v[2:3], off
	global_load_dwordx2 v[159:160], v[10:11], off offset:864
	v_add_co_u32 v2, vcc_lo, v2, s3
	v_add_co_ci_u32_e32 v3, vcc_lo, s2, v3, vcc_lo
	s_waitcnt vmcnt(0)
	v_mul_f32_e32 v6, v5, v160
	v_fmac_f32_e32 v6, v4, v159
	v_mul_f32_e32 v4, v4, v160
	v_fma_f32 v7, v5, v159, -v4
	global_load_dwordx2 v[4:5], v[2:3], off
	ds_write2_b64 v120, v[14:15], v[6:7] offset0:56 offset1:108
	v_add_co_u32 v6, vcc_lo, 0x2000, v8
	v_add_co_ci_u32_e32 v7, vcc_lo, 0, v9, vcc_lo
	v_add_co_u32 v2, vcc_lo, v2, s15
	v_add_co_ci_u32_e32 v3, vcc_lo, s14, v3, vcc_lo
	global_load_dwordx2 v[163:164], v[6:7], off offset:128
	s_waitcnt vmcnt(0)
	v_mul_f32_e32 v12, v5, v164
	v_fmac_f32_e32 v12, v4, v163
	v_mul_f32_e32 v4, v4, v164
	v_fma_f32 v13, v5, v163, -v4
	global_load_dwordx2 v[4:5], v[2:3], off
	global_load_dwordx2 v[157:158], v[10:11], off offset:1280
	v_add_co_u32 v2, vcc_lo, v2, s3
	v_add_co_ci_u32_e32 v3, vcc_lo, s2, v3, vcc_lo
	s_waitcnt vmcnt(0)
	v_mul_f32_e32 v14, v5, v158
	v_fmac_f32_e32 v14, v4, v157
	v_mul_f32_e32 v4, v4, v158
	v_fma_f32 v15, v5, v157, -v4
	global_load_dwordx2 v[4:5], v[2:3], off
	global_load_dwordx2 v[155:156], v[6:7], off offset:544
	v_add_co_u32 v2, vcc_lo, v2, s15
	v_add_co_ci_u32_e32 v3, vcc_lo, s14, v3, vcc_lo
	s_waitcnt vmcnt(0)
	v_mul_f32_e32 v16, v5, v156
	v_fmac_f32_e32 v16, v4, v155
	v_mul_f32_e32 v4, v4, v156
	v_fma_f32 v17, v5, v155, -v4
	ds_write2_b64 v183, v[12:13], v[16:17] offset0:16 offset1:68
	global_load_dwordx2 v[4:5], v[2:3], off
	global_load_dwordx2 v[151:152], v[10:11], off offset:1696
	v_add_co_u32 v2, vcc_lo, v2, s3
	v_add_co_ci_u32_e32 v3, vcc_lo, s2, v3, vcc_lo
	s_waitcnt vmcnt(0)
	v_mul_f32_e32 v10, v5, v152
	v_fmac_f32_e32 v10, v4, v151
	v_mul_f32_e32 v4, v4, v152
	v_fma_f32 v11, v5, v151, -v4
	ds_write2_b64 v120, v[14:15], v[10:11] offset0:160 offset1:212
	global_load_dwordx2 v[4:5], v[2:3], off
	global_load_dwordx2 v[153:154], v[6:7], off offset:960
	v_add_co_u32 v2, vcc_lo, v2, s15
	v_add_co_ci_u32_e32 v3, vcc_lo, s14, v3, vcc_lo
	s_waitcnt vmcnt(0)
	v_mul_f32_e32 v10, v5, v154
	v_fmac_f32_e32 v10, v4, v153
	v_mul_f32_e32 v4, v4, v154
	v_fma_f32 v11, v5, v153, -v4
	global_load_dwordx2 v[4:5], v[2:3], off
	global_load_dwordx2 v[147:148], v[0:1], off offset:64
	v_add_co_u32 v2, vcc_lo, v2, s3
	v_add_co_ci_u32_e32 v3, vcc_lo, s2, v3, vcc_lo
	s_waitcnt vmcnt(0)
	v_mul_f32_e32 v12, v5, v148
	v_fmac_f32_e32 v12, v4, v147
	v_mul_f32_e32 v4, v4, v148
	v_fma_f32 v13, v5, v147, -v4
	;; [unrolled: 9-line block ×3, first 2 shown]
	ds_write2_b64 v183, v[10:11], v[14:15] offset0:120 offset1:172
	global_load_dwordx2 v[4:5], v[2:3], off
	global_load_dwordx2 v[149:150], v[0:1], off offset:480
	s_waitcnt vmcnt(0)
	v_mul_f32_e32 v10, v5, v150
	v_fmac_f32_e32 v10, v4, v149
	v_mul_f32_e32 v4, v4, v150
	v_fma_f32 v11, v5, v149, -v4
	v_add_co_u32 v4, vcc_lo, v2, s3
	v_add_co_ci_u32_e32 v5, vcc_lo, s2, v3, vcc_lo
	ds_write2_b64 v184, v[12:13], v[10:11] offset0:8 offset1:60
	global_load_dwordx2 v[10:11], v[4:5], off
	global_load_dwordx2 v[143:144], v[6:7], off offset:1792
	v_add_co_u32 v4, vcc_lo, v4, s15
	v_add_co_ci_u32_e32 v5, vcc_lo, s14, v5, vcc_lo
	global_load_dwordx2 v[6:7], v[4:5], off
	global_load_dwordx2 v[177:178], v[0:1], off offset:896
	s_waitcnt vmcnt(2)
	v_mul_f32_e32 v2, v11, v144
	v_mul_f32_e32 v3, v10, v144
	v_fmac_f32_e32 v2, v10, v143
	v_fma_f32 v3, v11, v143, -v3
	s_waitcnt vmcnt(0)
	v_mul_f32_e32 v0, v7, v178
	v_mul_f32_e32 v1, v6, v178
	v_fmac_f32_e32 v0, v6, v177
	v_fma_f32 v1, v7, v177, -v1
	ds_write_b64 v199, v[0:1] offset:4992
	v_add_co_u32 v0, vcc_lo, v4, s3
	v_add_co_ci_u32_e32 v1, vcc_lo, s2, v5, vcc_lo
	v_add_co_u32 v4, vcc_lo, 0x2800, v8
	v_add_co_ci_u32_e32 v5, vcc_lo, 0, v9, vcc_lo
	global_load_dwordx2 v[0:1], v[0:1], off
	v_cmp_gt_u16_e32 vcc_lo, 26, v121
	global_load_dwordx2 v[179:180], v[4:5], off offset:160
	v_cndmask_b32_e32 v124, v197, v136, vcc_lo
	s_waitcnt vmcnt(0)
	v_mul_f32_e32 v4, v1, v180
	v_fmac_f32_e32 v4, v0, v179
	v_mul_f32_e32 v0, v0, v180
	v_fma_f32 v5, v1, v179, -v0
	ds_write2_b64 v78, v[2:3], v[4:5] offset0:96 offset1:148
	s_waitcnt lgkmcnt(0)
	s_waitcnt_vscnt null, 0x0
	s_barrier
	buffer_gl0_inv
	ds_read2_b64 v[0:3], v199 offset1:52
	ds_read2_b64 v[4:7], v184 offset0:112 offset1:164
	ds_read2_b64 v[8:11], v77 offset0:88 offset1:140
	;; [unrolled: 1-line block ×12, first 2 shown]
	s_waitcnt lgkmcnt(0)
	s_barrier
	buffer_gl0_inv
	v_sub_f32_e32 v54, v0, v6
	v_sub_f32_e32 v8, v2, v8
	;; [unrolled: 1-line block ×4, first 2 shown]
	v_fma_f32 v52, v0, 2.0, -v54
	v_fma_f32 v6, v2, 2.0, -v8
	;; [unrolled: 1-line block ×3, first 2 shown]
	v_sub_f32_e32 v2, v12, v10
	v_sub_f32_e32 v3, v13, v11
	v_fma_f32 v53, v1, 2.0, -v55
	v_fma_f32 v0, v12, 2.0, -v2
	v_fma_f32 v1, v13, 2.0, -v3
	v_sub_f32_e32 v12, v14, v16
	v_sub_f32_e32 v13, v15, v17
	v_sub_f32_e32 v16, v20, v18
	v_sub_f32_e32 v17, v21, v19
	v_fma_f32 v10, v14, 2.0, -v12
	v_fma_f32 v11, v15, 2.0, -v13
	v_fma_f32 v14, v20, 2.0, -v16
	v_fma_f32 v15, v21, 2.0, -v17
	v_sub_f32_e32 v20, v22, v24
	v_sub_f32_e32 v21, v23, v25
	v_sub_f32_e32 v24, v28, v26
	v_sub_f32_e32 v25, v29, v27
	v_fma_f32 v18, v22, 2.0, -v20
	;; [unrolled: 8-line block ×5, first 2 shown]
	v_fma_f32 v43, v47, 2.0, -v45
	v_fma_f32 v46, v4, 2.0, -v48
	;; [unrolled: 1-line block ×3, first 2 shown]
	v_lshlrev_b16 v4, 1, v121
	v_mov_b32_e32 v5, 3
	v_lshlrev_b32_sdwa v255, v5, v4 dst_sel:DWORD dst_unused:UNUSED_PAD src0_sel:DWORD src1_sel:WORD_0
	ds_write_b128 v255, v[52:55]
	ds_write_b128 v254, v[6:9]
	ds_write_b128 v196, v[0:3] offset:1664
	ds_write_b128 v196, v[10:13] offset:2496
	;; [unrolled: 1-line block ×11, first 2 shown]
	v_mul_u32_u24_e32 v0, 12, v79
	s_waitcnt lgkmcnt(0)
	s_barrier
	buffer_gl0_inv
	ds_read2_b64 v[24:27], v199 offset1:52
	ds_read2_b64 v[72:75], v199 offset0:104 offset1:156
	ds_read2_b64 v[68:71], v182 offset0:80 offset1:132
	;; [unrolled: 1-line block ×12, first 2 shown]
	v_lshlrev_b32_e32 v16, 3, v0
	s_clause 0x3
	global_load_dwordx4 v[0:3], v16, s[10:11] offset:48
	global_load_dwordx4 v[8:11], v16, s[10:11] offset:32
	;; [unrolled: 1-line block ×3, first 2 shown]
	global_load_dwordx4 v[20:23], v16, s[10:11]
	s_waitcnt vmcnt(2) lgkmcnt(7)
	v_mul_f32_e32 v82, v56, v9
	s_waitcnt vmcnt(1)
	v_mul_f32_e32 v87, v64, v13
	s_waitcnt vmcnt(0)
	v_mul_f32_e32 v4, v73, v21
	v_mul_f32_e32 v89, v68, v23
	;; [unrolled: 1-line block ×4, first 2 shown]
	v_fmac_f32_e32 v87, v65, v12
	v_fma_f32 v92, v72, v20, -v4
	v_mul_f32_e32 v4, v69, v23
	v_fmac_f32_e32 v84, v61, v14
	v_fmac_f32_e32 v89, v69, v22
	v_mul_f32_e32 v69, v70, v23
	v_fmac_f32_e32 v91, v73, v20
	v_fma_f32 v88, v68, v22, -v4
	v_mul_f32_e32 v4, v65, v13
	v_mul_f32_e32 v65, v66, v13
	v_fmac_f32_e32 v82, v57, v8
	v_fmac_f32_e32 v69, v71, v22
	v_fma_f32 v86, v64, v12, -v4
	v_mul_f32_e32 v4, v61, v15
	v_fmac_f32_e32 v65, v67, v12
	v_fma_f32 v83, v60, v14, -v4
	v_mul_f32_e32 v4, v57, v9
	s_waitcnt lgkmcnt(5)
	v_mul_f32_e32 v57, v50, v1
	v_fma_f32 v81, v56, v8, -v4
	v_mul_f32_e32 v4, v53, v11
	v_fmac_f32_e32 v57, v51, v0
	v_fma_f32 v80, v52, v10, -v4
	v_mul_f32_e32 v52, v52, v11
	v_mul_f32_e32 v4, v49, v1
	v_fmac_f32_e32 v52, v53, v10
	v_fma_f32 v53, v48, v0, -v4
	v_mul_f32_e32 v48, v48, v1
	s_waitcnt lgkmcnt(4)
	v_mul_f32_e32 v4, v45, v3
	v_fmac_f32_e32 v48, v49, v0
	v_fma_f32 v49, v44, v2, -v4
	s_clause 0x1
	global_load_dwordx4 v[4:7], v16, s[10:11] offset:80
	global_load_dwordx4 v[16:19], v16, s[10:11] offset:64
	v_mul_f32_e32 v44, v44, v3
	s_waitcnt vmcnt(0) lgkmcnt(0)
	s_barrier
	buffer_gl0_inv
	v_fmac_f32_e32 v44, v45, v2
	v_mul_f32_e32 v73, v34, v5
	v_mul_f32_e32 v45, v41, v17
	v_fmac_f32_e32 v73, v35, v4
	v_fma_f32 v45, v40, v16, -v45
	v_mul_f32_e32 v40, v40, v17
	v_fmac_f32_e32 v40, v41, v16
	v_mul_f32_e32 v41, v37, v19
	v_fma_f32 v41, v36, v18, -v41
	v_mul_f32_e32 v36, v36, v19
	v_fmac_f32_e32 v36, v37, v18
	v_mul_f32_e32 v37, v33, v5
	;; [unrolled: 4-line block ×4, first 2 shown]
	v_fma_f32 v85, v74, v20, -v29
	v_mul_f32_e32 v29, v71, v23
	v_mul_f32_e32 v74, v74, v21
	;; [unrolled: 1-line block ×3, first 2 shown]
	v_fma_f32 v68, v70, v22, -v29
	v_mul_f32_e32 v29, v67, v13
	v_fmac_f32_e32 v74, v75, v20
	v_mul_f32_e32 v75, v30, v7
	v_mul_f32_e32 v67, v42, v17
	v_fmac_f32_e32 v71, v39, v18
	v_fma_f32 v64, v66, v12, -v29
	v_mul_f32_e32 v29, v63, v15
	v_fmac_f32_e32 v75, v31, v6
	v_fmac_f32_e32 v67, v43, v16
	v_fma_f32 v61, v62, v14, -v29
	v_mul_f32_e32 v29, v59, v9
	v_mul_f32_e32 v62, v62, v15
	v_fma_f32 v60, v58, v8, -v29
	v_mul_f32_e32 v29, v55, v11
	v_mul_f32_e32 v58, v58, v9
	v_fmac_f32_e32 v62, v63, v14
	v_mul_f32_e32 v63, v46, v3
	v_fma_f32 v56, v54, v10, -v29
	v_mul_f32_e32 v54, v54, v11
	v_mul_f32_e32 v29, v51, v1
	v_fmac_f32_e32 v58, v59, v8
	v_fmac_f32_e32 v63, v47, v2
	;; [unrolled: 1-line block ×3, first 2 shown]
	v_fma_f32 v55, v50, v0, -v29
	v_mul_f32_e32 v29, v47, v3
	v_fma_f32 v59, v46, v2, -v29
	v_mul_f32_e32 v29, v43, v17
	;; [unrolled: 2-line block ×5, first 2 shown]
	v_add_f32_e32 v34, v91, v28
	v_fma_f32 v90, v30, v6, -v29
	v_add_f32_e32 v30, v25, v91
	v_add_f32_e32 v29, v24, v92
	;; [unrolled: 1-line block ×23, first 2 shown]
	v_sub_f32_e32 v28, v91, v28
	v_add_f32_e32 v30, v29, v33
	v_add_f32_e32 v29, v92, v33
	v_sub_f32_e32 v33, v92, v33
	v_mul_f32_e32 v35, 0xbeedf032, v28
	v_mul_f32_e32 v43, 0xbf52af12, v28
	;; [unrolled: 1-line block ×6, first 2 shown]
	v_fma_f32 v38, 0x3f62ad3f, v29, -v35
	v_mul_f32_e32 v39, 0xbeedf032, v33
	v_fmac_f32_e32 v35, 0x3f62ad3f, v29
	v_fma_f32 v46, 0x3f116cb1, v29, -v43
	v_mul_f32_e32 v47, 0xbf52af12, v33
	v_fmac_f32_e32 v43, 0x3f116cb1, v29
	v_fma_f32 v91, 0x3df6dbef, v29, -v51
	v_mul_f32_e32 v92, 0xbf7e222b, v33
	v_fmac_f32_e32 v51, 0x3df6dbef, v29
	v_fma_f32 v95, 0xbeb58ec6, v29, -v94
	v_mul_f32_e32 v96, 0xbf6f5d39, v33
	v_fmac_f32_e32 v94, 0xbeb58ec6, v29
	v_fma_f32 v99, 0xbf3f9e67, v29, -v98
	v_mul_f32_e32 v100, 0xbf29c268, v33
	v_fmac_f32_e32 v98, 0xbf3f9e67, v29
	v_fma_f32 v102, 0xbf788fa5, v29, -v28
	v_mul_f32_e32 v33, 0xbe750f2a, v33
	v_fmac_f32_e32 v28, 0xbf788fa5, v29
	v_add_f32_e32 v38, v24, v38
	v_fmamk_f32 v42, v34, 0x3f62ad3f, v39
	v_add_f32_e32 v35, v24, v35
	v_fma_f32 v39, 0x3f62ad3f, v34, -v39
	v_add_f32_e32 v46, v24, v46
	v_fmamk_f32 v50, v34, 0x3f116cb1, v47
	v_add_f32_e32 v43, v24, v43
	v_fma_f32 v47, 0x3f116cb1, v34, -v47
	v_add_f32_e32 v91, v24, v91
	v_fmamk_f32 v93, v34, 0x3df6dbef, v92
	v_add_f32_e32 v51, v24, v51
	v_fma_f32 v92, 0x3df6dbef, v34, -v92
	v_add_f32_e32 v95, v24, v95
	v_fmamk_f32 v97, v34, 0xbeb58ec6, v96
	v_add_f32_e32 v94, v24, v94
	v_fma_f32 v96, 0xbeb58ec6, v34, -v96
	v_add_f32_e32 v99, v24, v99
	v_fmamk_f32 v101, v34, 0xbf3f9e67, v100
	v_add_f32_e32 v98, v24, v98
	v_fma_f32 v100, 0xbf3f9e67, v34, -v100
	v_add_f32_e32 v102, v24, v102
	v_fmamk_f32 v103, v34, 0xbf788fa5, v33
	v_add_f32_e32 v24, v24, v28
	v_fma_f32 v28, 0xbf788fa5, v34, -v33
	v_add_f32_e32 v29, v89, v32
	v_sub_f32_e32 v32, v89, v32
	v_add_f32_e32 v42, v25, v42
	v_add_f32_e32 v39, v25, v39
	v_add_f32_e32 v50, v25, v50
	v_add_f32_e32 v47, v25, v47
	v_add_f32_e32 v93, v25, v93
	v_add_f32_e32 v92, v25, v92
	v_add_f32_e32 v97, v25, v97
	v_add_f32_e32 v96, v25, v96
	v_add_f32_e32 v101, v25, v101
	v_add_f32_e32 v100, v25, v100
	v_add_f32_e32 v103, v25, v103
	v_add_f32_e32 v25, v25, v28
	v_add_f32_e32 v28, v88, v37
	v_mul_f32_e32 v34, 0xbf52af12, v32
	v_sub_f32_e32 v33, v88, v37
	v_fma_f32 v37, 0x3f116cb1, v28, -v34
	v_fmac_f32_e32 v34, 0x3f116cb1, v28
	v_add_f32_e32 v37, v37, v38
	v_mul_f32_e32 v38, 0xbf52af12, v33
	v_add_f32_e32 v34, v34, v35
	v_fmamk_f32 v88, v29, 0x3f116cb1, v38
	v_fma_f32 v35, 0x3f116cb1, v29, -v38
	v_mul_f32_e32 v38, 0xbf6f5d39, v32
	v_add_f32_e32 v42, v88, v42
	v_add_f32_e32 v35, v35, v39
	v_fma_f32 v39, 0xbeb58ec6, v28, -v38
	v_fmac_f32_e32 v38, 0xbeb58ec6, v28
	v_add_f32_e32 v39, v39, v46
	v_mul_f32_e32 v46, 0xbf6f5d39, v33
	v_add_f32_e32 v38, v38, v43
	v_fmamk_f32 v88, v29, 0xbeb58ec6, v46
	v_fma_f32 v43, 0xbeb58ec6, v29, -v46
	v_mul_f32_e32 v46, 0xbe750f2a, v32
	v_add_f32_e32 v50, v88, v50
	v_add_f32_e32 v43, v43, v47
	v_fma_f32 v47, 0xbf788fa5, v28, -v46
	v_mul_f32_e32 v88, 0xbe750f2a, v33
	v_fmac_f32_e32 v46, 0xbf788fa5, v28
	v_add_f32_e32 v47, v47, v91
	v_fmamk_f32 v89, v29, 0xbf788fa5, v88
	v_add_f32_e32 v46, v46, v51
	v_fma_f32 v51, 0xbf788fa5, v29, -v88
	v_mul_f32_e32 v88, 0x3f29c268, v32
	v_add_f32_e32 v89, v89, v93
	v_add_f32_e32 v51, v51, v92
	v_fma_f32 v91, 0xbf3f9e67, v28, -v88
	v_mul_f32_e32 v92, 0x3f29c268, v33
	v_fmac_f32_e32 v88, 0xbf3f9e67, v28
	v_add_f32_e32 v91, v91, v95
	v_fmamk_f32 v93, v29, 0xbf3f9e67, v92
	v_add_f32_e32 v88, v88, v94
	v_fma_f32 v92, 0xbf3f9e67, v29, -v92
	v_mul_f32_e32 v94, 0x3f7e222b, v32
	v_mul_f32_e32 v32, 0x3eedf032, v32
	v_add_f32_e32 v93, v93, v97
	v_add_f32_e32 v92, v92, v96
	v_fma_f32 v95, 0x3df6dbef, v28, -v94
	v_mul_f32_e32 v96, 0x3f7e222b, v33
	v_fmac_f32_e32 v94, 0x3df6dbef, v28
	v_mul_f32_e32 v33, 0x3eedf032, v33
	v_add_f32_e32 v95, v95, v99
	v_fmamk_f32 v97, v29, 0x3df6dbef, v96
	v_add_f32_e32 v94, v94, v98
	v_fma_f32 v98, 0x3f62ad3f, v28, -v32
	v_fmamk_f32 v99, v29, 0x3f62ad3f, v33
	v_fmac_f32_e32 v32, 0x3f62ad3f, v28
	v_fma_f32 v28, 0x3f62ad3f, v29, -v33
	v_sub_f32_e32 v33, v87, v36
	v_fma_f32 v96, 0x3df6dbef, v29, -v96
	v_add_f32_e32 v29, v87, v36
	v_add_f32_e32 v24, v32, v24
	;; [unrolled: 1-line block ×4, first 2 shown]
	v_mul_f32_e32 v36, 0xbf7e222b, v33
	v_sub_f32_e32 v32, v86, v41
	v_add_f32_e32 v96, v96, v100
	v_add_f32_e32 v98, v98, v102
	;; [unrolled: 1-line block ×3, first 2 shown]
	v_fma_f32 v41, 0x3df6dbef, v28, -v36
	v_fmac_f32_e32 v36, 0x3df6dbef, v28
	v_mul_f32_e32 v87, 0x3eedf032, v32
	v_add_f32_e32 v97, v97, v101
	v_add_f32_e32 v37, v41, v37
	v_mul_f32_e32 v41, 0xbf7e222b, v32
	v_add_f32_e32 v34, v36, v34
	v_fma_f32 v36, 0x3df6dbef, v29, -v41
	v_fmamk_f32 v86, v29, 0x3df6dbef, v41
	v_add_f32_e32 v35, v36, v35
	v_mul_f32_e32 v36, 0xbe750f2a, v33
	v_add_f32_e32 v42, v86, v42
	v_fma_f32 v41, 0xbf788fa5, v28, -v36
	v_fmac_f32_e32 v36, 0xbf788fa5, v28
	v_add_f32_e32 v39, v41, v39
	v_mul_f32_e32 v41, 0xbe750f2a, v32
	v_add_f32_e32 v36, v36, v38
	v_fmamk_f32 v86, v29, 0xbf788fa5, v41
	v_fma_f32 v38, 0xbf788fa5, v29, -v41
	v_mul_f32_e32 v41, 0x3f6f5d39, v33
	v_add_f32_e32 v50, v86, v50
	v_add_f32_e32 v38, v38, v43
	v_fma_f32 v43, 0xbeb58ec6, v28, -v41
	v_fmac_f32_e32 v41, 0xbeb58ec6, v28
	v_add_f32_e32 v43, v43, v47
	v_mul_f32_e32 v47, 0x3f6f5d39, v32
	v_add_f32_e32 v41, v41, v46
	v_fmamk_f32 v86, v29, 0xbeb58ec6, v47
	v_fma_f32 v46, 0xbeb58ec6, v29, -v47
	v_mul_f32_e32 v47, 0x3eedf032, v33
	v_add_f32_e32 v86, v86, v89
	v_add_f32_e32 v46, v46, v51
	v_fma_f32 v51, 0x3f62ad3f, v28, -v47
	v_fmac_f32_e32 v47, 0x3f62ad3f, v28
	v_fmamk_f32 v89, v29, 0x3f62ad3f, v87
	v_fma_f32 v87, 0x3f62ad3f, v29, -v87
	v_add_f32_e32 v51, v51, v91
	v_add_f32_e32 v47, v47, v88
	v_mul_f32_e32 v88, 0xbf52af12, v33
	v_mul_f32_e32 v33, 0xbf29c268, v33
	v_add_f32_e32 v87, v87, v92
	v_mul_f32_e32 v92, 0xbf52af12, v32
	v_mul_f32_e32 v32, 0xbf29c268, v32
	v_fma_f32 v91, 0x3f116cb1, v28, -v88
	v_fmac_f32_e32 v88, 0x3f116cb1, v28
	v_add_f32_e32 v89, v89, v93
	v_fmamk_f32 v93, v29, 0x3f116cb1, v92
	v_fma_f32 v92, 0x3f116cb1, v29, -v92
	v_add_f32_e32 v91, v91, v95
	v_add_f32_e32 v88, v88, v94
	v_fma_f32 v94, 0xbf3f9e67, v28, -v33
	v_fmac_f32_e32 v33, 0xbf3f9e67, v28
	v_fma_f32 v28, 0xbf3f9e67, v29, -v32
	v_fmamk_f32 v95, v29, 0xbf3f9e67, v32
	v_add_f32_e32 v29, v84, v40
	v_sub_f32_e32 v32, v83, v45
	v_add_f32_e32 v24, v33, v24
	v_sub_f32_e32 v33, v84, v40
	v_add_f32_e32 v25, v28, v25
	v_add_f32_e32 v28, v83, v45
	;; [unrolled: 1-line block ×4, first 2 shown]
	v_mul_f32_e32 v40, 0xbf6f5d39, v33
	v_add_f32_e32 v95, v95, v99
	v_add_f32_e32 v93, v93, v97
	v_fma_f32 v45, 0xbeb58ec6, v28, -v40
	v_fmac_f32_e32 v40, 0xbeb58ec6, v28
	v_add_f32_e32 v37, v45, v37
	v_mul_f32_e32 v45, 0xbf6f5d39, v32
	v_add_f32_e32 v34, v40, v34
	v_fma_f32 v40, 0xbeb58ec6, v29, -v45
	v_fmamk_f32 v83, v29, 0xbeb58ec6, v45
	v_add_f32_e32 v35, v40, v35
	v_mul_f32_e32 v40, 0x3f29c268, v33
	v_add_f32_e32 v42, v83, v42
	v_fma_f32 v45, 0xbf3f9e67, v28, -v40
	v_fmac_f32_e32 v40, 0xbf3f9e67, v28
	v_add_f32_e32 v39, v45, v39
	v_mul_f32_e32 v45, 0x3f29c268, v32
	v_add_f32_e32 v36, v40, v36
	v_fma_f32 v40, 0xbf3f9e67, v29, -v45
	v_fmamk_f32 v83, v29, 0xbf3f9e67, v45
	v_add_f32_e32 v38, v40, v38
	v_mul_f32_e32 v40, 0x3eedf032, v33
	v_add_f32_e32 v50, v83, v50
	v_fma_f32 v45, 0x3f62ad3f, v28, -v40
	v_fmac_f32_e32 v40, 0x3f62ad3f, v28
	v_add_f32_e32 v43, v45, v43
	v_mul_f32_e32 v45, 0x3eedf032, v32
	v_add_f32_e32 v40, v40, v41
	v_fmamk_f32 v83, v29, 0x3f62ad3f, v45
	v_fma_f32 v41, 0x3f62ad3f, v29, -v45
	v_mul_f32_e32 v45, 0xbf7e222b, v33
	v_add_f32_e32 v83, v83, v86
	v_add_f32_e32 v41, v41, v46
	v_fma_f32 v46, 0x3df6dbef, v28, -v45
	v_fmac_f32_e32 v45, 0x3df6dbef, v28
	v_add_f32_e32 v46, v46, v51
	v_mul_f32_e32 v51, 0xbf7e222b, v32
	v_add_f32_e32 v45, v45, v47
	v_fmamk_f32 v84, v29, 0x3df6dbef, v51
	v_fma_f32 v47, 0x3df6dbef, v29, -v51
	v_mul_f32_e32 v51, 0x3e750f2a, v33
	v_mul_f32_e32 v33, 0x3f52af12, v33
	v_add_f32_e32 v84, v84, v89
	v_add_f32_e32 v47, v47, v87
	v_fma_f32 v86, 0xbf788fa5, v28, -v51
	v_fmac_f32_e32 v51, 0xbf788fa5, v28
	v_mul_f32_e32 v87, 0x3e750f2a, v32
	v_mul_f32_e32 v32, 0x3f52af12, v32
	v_add_f32_e32 v86, v86, v91
	v_add_f32_e32 v51, v51, v88
	v_fma_f32 v88, 0x3f116cb1, v28, -v33
	v_fmac_f32_e32 v33, 0x3f116cb1, v28
	v_fma_f32 v28, 0x3f116cb1, v29, -v32
	v_fmamk_f32 v89, v29, 0xbf788fa5, v87
	v_fma_f32 v87, 0xbf788fa5, v29, -v87
	v_fmamk_f32 v91, v29, 0x3f116cb1, v32
	v_add_f32_e32 v24, v33, v24
	v_sub_f32_e32 v33, v82, v44
	v_add_f32_e32 v25, v28, v25
	v_add_f32_e32 v28, v81, v49
	;; [unrolled: 1-line block ×3, first 2 shown]
	v_sub_f32_e32 v32, v81, v49
	v_mul_f32_e32 v44, 0xbf29c268, v33
	v_add_f32_e32 v87, v87, v92
	v_add_f32_e32 v88, v88, v94
	;; [unrolled: 1-line block ×3, first 2 shown]
	v_sub_f32_e32 v95, v52, v48
	v_fma_f32 v49, 0xbf3f9e67, v28, -v44
	v_fmac_f32_e32 v44, 0xbf3f9e67, v28
	v_add_f32_e32 v89, v89, v93
	v_add_f32_e32 v93, v80, v53
	v_sub_f32_e32 v80, v80, v53
	v_add_f32_e32 v37, v49, v37
	v_mul_f32_e32 v49, 0xbf29c268, v32
	v_add_f32_e32 v34, v44, v34
	v_add_f32_e32 v94, v52, v48
	v_fma_f32 v44, 0xbf3f9e67, v29, -v49
	v_fmamk_f32 v81, v29, 0xbf3f9e67, v49
	v_add_f32_e32 v35, v44, v35
	v_mul_f32_e32 v44, 0x3f7e222b, v33
	v_add_f32_e32 v42, v81, v42
	v_fma_f32 v49, 0x3df6dbef, v28, -v44
	v_fmac_f32_e32 v44, 0x3df6dbef, v28
	v_add_f32_e32 v39, v49, v39
	v_mul_f32_e32 v49, 0x3f7e222b, v32
	v_add_f32_e32 v36, v44, v36
	v_fma_f32 v44, 0x3df6dbef, v29, -v49
	v_fmamk_f32 v81, v29, 0x3df6dbef, v49
	v_add_f32_e32 v38, v44, v38
	v_mul_f32_e32 v44, 0xbf52af12, v33
	v_add_f32_e32 v81, v81, v50
	v_fma_f32 v49, 0x3f116cb1, v28, -v44
	v_fmac_f32_e32 v44, 0x3f116cb1, v28
	v_add_f32_e32 v43, v49, v43
	v_mul_f32_e32 v49, 0xbf52af12, v32
	;; [unrolled: 10-line block ×3, first 2 shown]
	v_fmamk_f32 v50, v29, 0xbf788fa5, v49
	v_add_f32_e32 v83, v50, v84
	v_add_f32_e32 v84, v44, v45
	v_fma_f32 v44, 0xbf788fa5, v29, -v49
	v_add_f32_e32 v47, v44, v47
	v_mul_f32_e32 v44, 0x3eedf032, v33
	v_mul_f32_e32 v33, 0xbf6f5d39, v33
	v_fma_f32 v45, 0x3f62ad3f, v28, -v44
	v_fmac_f32_e32 v44, 0x3f62ad3f, v28
	v_add_f32_e32 v86, v45, v86
	v_mul_f32_e32 v45, 0x3eedf032, v32
	v_add_f32_e32 v92, v44, v51
	v_mul_f32_e32 v32, 0xbf6f5d39, v32
	v_fma_f32 v44, 0x3f62ad3f, v29, -v45
	v_fmamk_f32 v49, v29, 0x3f62ad3f, v45
	v_add_f32_e32 v87, v44, v87
	v_fma_f32 v44, 0xbeb58ec6, v28, -v33
	v_fmac_f32_e32 v33, 0xbeb58ec6, v28
	v_add_f32_e32 v89, v49, v89
	v_add_f32_e32 v88, v44, v88
	;; [unrolled: 1-line block ×3, first 2 shown]
	v_fma_f32 v24, 0xbeb58ec6, v29, -v32
	v_fmamk_f32 v44, v29, 0xbeb58ec6, v32
	v_add_f32_e32 v29, v24, v25
	v_mul_f32_e32 v24, 0xbe750f2a, v95
	v_add_f32_e32 v91, v44, v91
	v_fma_f32 v25, 0xbf788fa5, v93, -v24
	v_fmac_f32_e32 v24, 0xbf788fa5, v93
	v_add_f32_e32 v48, v25, v37
	v_mul_f32_e32 v25, 0xbe750f2a, v80
	v_add_f32_e32 v24, v24, v34
	v_fmamk_f32 v32, v94, 0xbf788fa5, v25
	v_fma_f32 v25, 0xbf788fa5, v94, -v25
	v_add_f32_e32 v49, v32, v42
	v_mul_f32_e32 v32, 0x3eedf032, v95
	v_add_f32_e32 v25, v25, v35
	v_mul_f32_e32 v42, 0x3f7e222b, v95
	v_fma_f32 v33, 0x3f62ad3f, v93, -v32
	v_fmac_f32_e32 v32, 0x3f62ad3f, v93
	v_add_f32_e32 v50, v33, v39
	v_mul_f32_e32 v33, 0x3eedf032, v80
	v_add_f32_e32 v32, v32, v36
	v_fmamk_f32 v34, v94, 0x3f62ad3f, v33
	v_fma_f32 v33, 0x3f62ad3f, v94, -v33
	v_add_f32_e32 v51, v34, v81
	v_mul_f32_e32 v34, 0xbf29c268, v95
	v_add_f32_e32 v33, v33, v38
	v_add_f32_e32 v81, v85, v90
	v_fma_f32 v35, 0xbf3f9e67, v93, -v34
	v_fmac_f32_e32 v34, 0xbf3f9e67, v93
	v_add_f32_e32 v52, v35, v43
	v_mul_f32_e32 v35, 0xbf29c268, v80
	v_add_f32_e32 v34, v34, v40
	v_mul_f32_e32 v43, 0x3f7e222b, v80
	v_fmamk_f32 v36, v94, 0xbf3f9e67, v35
	v_fma_f32 v35, 0xbf3f9e67, v94, -v35
	v_add_f32_e32 v53, v36, v82
	v_mul_f32_e32 v36, 0x3f52af12, v95
	v_add_f32_e32 v35, v35, v41
	v_fmamk_f32 v41, v94, 0x3df6dbef, v43
	v_sub_f32_e32 v82, v85, v90
	v_fma_f32 v37, 0x3f116cb1, v93, -v36
	v_fmac_f32_e32 v36, 0x3f116cb1, v93
	v_add_f32_e32 v41, v41, v91
	v_mul_f32_e32 v96, 0xbf6f5d39, v82
	v_mul_f32_e32 v100, 0xbf29c268, v82
	v_add_f32_e32 v44, v37, v46
	v_mul_f32_e32 v37, 0x3f52af12, v80
	v_add_f32_e32 v36, v36, v84
	v_mul_f32_e32 v84, 0xbeedf032, v82
	v_fmamk_f32 v38, v94, 0x3f116cb1, v37
	v_fma_f32 v37, 0x3f116cb1, v94, -v37
	v_add_f32_e32 v45, v38, v83
	v_mul_f32_e32 v38, 0xbf6f5d39, v95
	v_add_f32_e32 v37, v37, v47
	v_fma_f32 v39, 0xbeb58ec6, v93, -v38
	v_fmac_f32_e32 v38, 0xbeb58ec6, v93
	v_add_f32_e32 v46, v39, v86
	v_mul_f32_e32 v39, 0xbf6f5d39, v80
	v_add_f32_e32 v80, v74, v75
	v_add_f32_e32 v38, v38, v92
	v_mul_f32_e32 v92, 0xbf7e222b, v82
	v_fmamk_f32 v40, v94, 0xbeb58ec6, v39
	v_fma_f32 v39, 0xbeb58ec6, v94, -v39
	v_fmamk_f32 v97, v80, 0xbeb58ec6, v96
	v_fma_f32 v96, 0xbeb58ec6, v80, -v96
	v_fmamk_f32 v101, v80, 0xbf3f9e67, v100
	v_add_f32_e32 v47, v40, v89
	v_fma_f32 v40, 0x3df6dbef, v93, -v42
	v_fmac_f32_e32 v42, 0x3df6dbef, v93
	v_add_f32_e32 v39, v39, v87
	v_fmamk_f32 v93, v80, 0x3df6dbef, v92
	v_fma_f32 v92, 0x3df6dbef, v80, -v92
	v_add_f32_e32 v40, v40, v88
	v_add_f32_e32 v42, v42, v28
	v_fma_f32 v28, 0x3df6dbef, v94, -v43
	v_mul_f32_e32 v88, 0xbf52af12, v82
	v_mul_f32_e32 v82, 0xbe750f2a, v82
	v_fma_f32 v100, 0xbf3f9e67, v80, -v100
	v_add_f32_e32 v93, v27, v93
	v_add_f32_e32 v43, v28, v29
	;; [unrolled: 1-line block ×4, first 2 shown]
	v_sub_f32_e32 v74, v74, v75
	v_fmamk_f32 v85, v80, 0x3f62ad3f, v84
	v_fma_f32 v84, 0x3f62ad3f, v80, -v84
	v_add_f32_e32 v28, v28, v68
	v_add_f32_e32 v29, v29, v69
	v_mul_f32_e32 v86, 0xbf52af12, v74
	v_mul_f32_e32 v94, 0xbf6f5d39, v74
	;; [unrolled: 1-line block ×3, first 2 shown]
	v_add_f32_e32 v28, v28, v64
	v_add_f32_e32 v29, v29, v65
	v_fma_f32 v87, 0x3f116cb1, v81, -v86
	v_fmac_f32_e32 v86, 0x3f116cb1, v81
	v_fma_f32 v95, 0xbeb58ec6, v81, -v94
	v_add_f32_e32 v28, v28, v61
	v_add_f32_e32 v29, v29, v62
	v_fmac_f32_e32 v94, 0xbeb58ec6, v81
	v_fma_f32 v99, 0xbf3f9e67, v81, -v98
	v_fmac_f32_e32 v98, 0xbf3f9e67, v81
	v_add_f32_e32 v28, v28, v60
	v_add_f32_e32 v29, v29, v58
	;; [unrolled: 1-line block ×3, first 2 shown]
	v_fmamk_f32 v89, v80, 0x3f116cb1, v88
	v_add_f32_e32 v86, v26, v86
	v_add_f32_e32 v28, v28, v56
	;; [unrolled: 1-line block ×3, first 2 shown]
	v_fma_f32 v88, 0x3f116cb1, v80, -v88
	v_add_f32_e32 v95, v26, v95
	v_add_f32_e32 v94, v26, v94
	v_add_f32_e32 v28, v28, v55
	v_add_f32_e32 v29, v29, v57
	v_add_f32_e32 v99, v26, v99
	v_add_f32_e32 v98, v26, v98
	v_fmamk_f32 v103, v80, 0xbf788fa5, v82
	v_add_f32_e32 v28, v28, v59
	v_add_f32_e32 v29, v29, v63
	;; [unrolled: 1-line block ×20, first 2 shown]
	v_mul_f32_e32 v75, 0xbeedf032, v74
	v_mul_f32_e32 v90, 0xbf7e222b, v74
	;; [unrolled: 1-line block ×3, first 2 shown]
	v_fma_f32 v83, 0x3f62ad3f, v81, -v75
	v_fmac_f32_e32 v75, 0x3f62ad3f, v81
	v_fma_f32 v91, 0x3df6dbef, v81, -v90
	v_fmac_f32_e32 v90, 0x3df6dbef, v81
	;; [unrolled: 2-line block ×3, first 2 shown]
	v_add_f32_e32 v83, v26, v83
	v_add_f32_e32 v75, v26, v75
	;; [unrolled: 1-line block ×6, first 2 shown]
	v_fma_f32 v74, 0xbf788fa5, v80, -v82
	v_add_f32_e32 v80, v69, v73
	v_sub_f32_e32 v69, v69, v73
	v_add_f32_e32 v27, v27, v74
	v_add_f32_e32 v74, v68, v72
	v_sub_f32_e32 v68, v68, v72
	v_mul_f32_e32 v72, 0xbf52af12, v69
	v_mul_f32_e32 v81, 0xbf52af12, v68
	v_fma_f32 v73, 0x3f116cb1, v74, -v72
	v_fmac_f32_e32 v72, 0x3f116cb1, v74
	v_fmamk_f32 v82, v80, 0x3f116cb1, v81
	v_add_f32_e32 v73, v73, v83
	v_add_f32_e32 v72, v72, v75
	v_fma_f32 v75, 0x3f116cb1, v80, -v81
	v_mul_f32_e32 v81, 0xbf6f5d39, v69
	v_add_f32_e32 v82, v82, v85
	v_add_f32_e32 v75, v75, v84
	v_fma_f32 v83, 0xbeb58ec6, v74, -v81
	v_fmac_f32_e32 v81, 0xbeb58ec6, v74
	v_mul_f32_e32 v84, 0xbf6f5d39, v68
	v_add_f32_e32 v83, v83, v87
	v_add_f32_e32 v81, v81, v86
	v_mul_f32_e32 v86, 0xbe750f2a, v69
	v_fmamk_f32 v85, v80, 0xbeb58ec6, v84
	v_fma_f32 v84, 0xbeb58ec6, v80, -v84
	v_fma_f32 v87, 0xbf788fa5, v74, -v86
	v_fmac_f32_e32 v86, 0xbf788fa5, v74
	v_add_f32_e32 v84, v84, v88
	v_mul_f32_e32 v88, 0xbe750f2a, v68
	v_add_f32_e32 v85, v85, v89
	v_add_f32_e32 v87, v87, v91
	;; [unrolled: 1-line block ×3, first 2 shown]
	v_mul_f32_e32 v90, 0x3f29c268, v69
	v_fmamk_f32 v89, v80, 0xbf788fa5, v88
	v_fma_f32 v88, 0xbf788fa5, v80, -v88
	v_fma_f32 v91, 0xbf3f9e67, v74, -v90
	v_fmac_f32_e32 v90, 0xbf3f9e67, v74
	v_add_f32_e32 v88, v88, v92
	v_mul_f32_e32 v92, 0x3f29c268, v68
	v_add_f32_e32 v89, v89, v93
	v_add_f32_e32 v91, v91, v95
	;; [unrolled: 1-line block ×3, first 2 shown]
	v_mul_f32_e32 v94, 0x3f7e222b, v69
	v_fmamk_f32 v93, v80, 0xbf3f9e67, v92
	v_fma_f32 v92, 0xbf3f9e67, v80, -v92
	v_mul_f32_e32 v69, 0x3eedf032, v69
	v_fma_f32 v95, 0x3df6dbef, v74, -v94
	v_fmac_f32_e32 v94, 0x3df6dbef, v74
	v_add_f32_e32 v92, v92, v96
	v_mul_f32_e32 v96, 0x3f7e222b, v68
	v_mul_f32_e32 v68, 0x3eedf032, v68
	v_add_f32_e32 v95, v95, v99
	v_add_f32_e32 v94, v94, v98
	v_fma_f32 v98, 0x3f62ad3f, v74, -v69
	v_fmac_f32_e32 v69, 0x3f62ad3f, v74
	v_fmamk_f32 v99, v80, 0x3f62ad3f, v68
	v_fma_f32 v68, 0x3f62ad3f, v80, -v68
	v_add_f32_e32 v93, v93, v97
	v_fmamk_f32 v97, v80, 0x3df6dbef, v96
	v_add_f32_e32 v26, v69, v26
	v_add_f32_e32 v69, v65, v71
	v_sub_f32_e32 v65, v65, v71
	v_add_f32_e32 v27, v68, v27
	v_add_f32_e32 v68, v64, v70
	v_sub_f32_e32 v64, v64, v70
	v_fma_f32 v96, 0x3df6dbef, v80, -v96
	v_mul_f32_e32 v70, 0xbf7e222b, v65
	v_add_f32_e32 v98, v98, v102
	v_add_f32_e32 v97, v97, v101
	v_mul_f32_e32 v80, 0xbe750f2a, v64
	v_add_f32_e32 v96, v96, v100
	v_fma_f32 v71, 0x3df6dbef, v68, -v70
	v_fmac_f32_e32 v70, 0x3df6dbef, v68
	v_add_f32_e32 v99, v99, v103
	v_add_f32_e32 v71, v71, v73
	v_mul_f32_e32 v73, 0xbf7e222b, v64
	v_add_f32_e32 v70, v70, v72
	v_fmamk_f32 v74, v69, 0x3df6dbef, v73
	v_fma_f32 v72, 0x3df6dbef, v69, -v73
	v_mul_f32_e32 v73, 0xbe750f2a, v65
	v_add_f32_e32 v74, v74, v82
	v_add_f32_e32 v72, v72, v75
	v_fma_f32 v75, 0xbf788fa5, v68, -v73
	v_fmac_f32_e32 v73, 0xbf788fa5, v68
	v_fmamk_f32 v82, v69, 0xbf788fa5, v80
	v_fma_f32 v80, 0xbf788fa5, v69, -v80
	v_add_f32_e32 v75, v75, v83
	v_add_f32_e32 v73, v73, v81
	v_mul_f32_e32 v81, 0x3f6f5d39, v65
	v_add_f32_e32 v80, v80, v84
	v_mul_f32_e32 v84, 0x3f6f5d39, v64
	v_add_f32_e32 v82, v82, v85
	v_fma_f32 v83, 0xbeb58ec6, v68, -v81
	v_fmac_f32_e32 v81, 0xbeb58ec6, v68
	v_fmamk_f32 v85, v69, 0xbeb58ec6, v84
	v_fma_f32 v84, 0xbeb58ec6, v69, -v84
	v_add_f32_e32 v83, v83, v87
	v_add_f32_e32 v81, v81, v86
	v_mul_f32_e32 v86, 0x3eedf032, v65
	v_add_f32_e32 v84, v84, v88
	v_mul_f32_e32 v88, 0x3eedf032, v64
	v_add_f32_e32 v85, v85, v89
	v_fma_f32 v87, 0x3f62ad3f, v68, -v86
	v_fmac_f32_e32 v86, 0x3f62ad3f, v68
	v_fmamk_f32 v89, v69, 0x3f62ad3f, v88
	v_fma_f32 v88, 0x3f62ad3f, v69, -v88
	v_add_f32_e32 v87, v87, v91
	v_add_f32_e32 v86, v86, v90
	v_mul_f32_e32 v90, 0xbf52af12, v65
	v_mul_f32_e32 v65, 0xbf29c268, v65
	v_add_f32_e32 v88, v88, v92
	v_mul_f32_e32 v92, 0xbf52af12, v64
	v_mul_f32_e32 v64, 0xbf29c268, v64
	v_fma_f32 v91, 0x3f116cb1, v68, -v90
	v_fmac_f32_e32 v90, 0x3f116cb1, v68
	v_add_f32_e32 v89, v89, v93
	v_fmamk_f32 v93, v69, 0x3f116cb1, v92
	v_fma_f32 v92, 0x3f116cb1, v69, -v92
	v_add_f32_e32 v91, v91, v95
	v_add_f32_e32 v90, v90, v94
	v_fma_f32 v94, 0xbf3f9e67, v68, -v65
	v_fmac_f32_e32 v65, 0xbf3f9e67, v68
	v_fmamk_f32 v95, v69, 0xbf3f9e67, v64
	v_fma_f32 v64, 0xbf3f9e67, v69, -v64
	v_add_f32_e32 v92, v92, v96
	v_add_f32_e32 v94, v94, v98
	;; [unrolled: 1-line block ×4, first 2 shown]
	v_sub_f32_e32 v62, v62, v67
	v_add_f32_e32 v27, v64, v27
	v_add_f32_e32 v64, v61, v66
	v_sub_f32_e32 v61, v61, v66
	v_add_f32_e32 v93, v93, v97
	v_mul_f32_e32 v66, 0xbf6f5d39, v62
	v_add_f32_e32 v95, v95, v99
	v_sub_f32_e32 v97, v56, v55
	v_mul_f32_e32 v68, 0xbf6f5d39, v61
	v_add_f32_e32 v96, v54, v57
	v_fma_f32 v67, 0xbeb58ec6, v64, -v66
	v_fmac_f32_e32 v66, 0xbeb58ec6, v64
	v_fmamk_f32 v69, v65, 0xbeb58ec6, v68
	v_fma_f32 v68, 0xbeb58ec6, v65, -v68
	v_add_f32_e32 v67, v67, v71
	v_add_f32_e32 v66, v66, v70
	v_mul_f32_e32 v70, 0x3f29c268, v62
	v_add_f32_e32 v69, v69, v74
	v_add_f32_e32 v68, v68, v72
	v_mul_f32_e32 v72, 0x3f29c268, v61
	v_fma_f32 v71, 0xbf3f9e67, v64, -v70
	v_fmac_f32_e32 v70, 0xbf3f9e67, v64
	v_fmamk_f32 v74, v65, 0xbf3f9e67, v72
	v_fma_f32 v72, 0xbf3f9e67, v65, -v72
	v_add_f32_e32 v71, v71, v75
	v_add_f32_e32 v70, v70, v73
	v_mul_f32_e32 v73, 0x3eedf032, v62
	v_add_f32_e32 v74, v74, v82
	v_add_f32_e32 v72, v72, v80
	v_mul_f32_e32 v80, 0x3eedf032, v61
	;; [unrolled: 10-line block ×3, first 2 shown]
	v_fma_f32 v83, 0x3df6dbef, v64, -v81
	v_fmac_f32_e32 v81, 0x3df6dbef, v64
	v_fmamk_f32 v85, v65, 0x3df6dbef, v84
	v_fma_f32 v84, 0x3df6dbef, v65, -v84
	v_add_f32_e32 v83, v83, v87
	v_add_f32_e32 v81, v81, v86
	v_mul_f32_e32 v86, 0x3e750f2a, v62
	v_mul_f32_e32 v62, 0x3f52af12, v62
	v_add_f32_e32 v84, v84, v88
	v_mul_f32_e32 v88, 0x3e750f2a, v61
	v_mul_f32_e32 v61, 0x3f52af12, v61
	v_fma_f32 v87, 0xbf788fa5, v64, -v86
	v_fmac_f32_e32 v86, 0xbf788fa5, v64
	v_add_f32_e32 v85, v85, v89
	v_fmamk_f32 v89, v65, 0xbf788fa5, v88
	v_fma_f32 v88, 0xbf788fa5, v65, -v88
	v_add_f32_e32 v87, v87, v91
	v_add_f32_e32 v86, v86, v90
	v_fma_f32 v90, 0x3f116cb1, v64, -v62
	v_fmac_f32_e32 v62, 0x3f116cb1, v64
	v_fmamk_f32 v91, v65, 0x3f116cb1, v61
	v_fma_f32 v61, 0x3f116cb1, v65, -v61
	v_add_f32_e32 v88, v88, v92
	v_add_f32_e32 v90, v90, v94
	;; [unrolled: 1-line block ×4, first 2 shown]
	v_sub_f32_e32 v58, v58, v63
	v_add_f32_e32 v27, v61, v27
	v_add_f32_e32 v61, v60, v59
	v_sub_f32_e32 v59, v60, v59
	v_add_f32_e32 v89, v89, v93
	v_mul_f32_e32 v60, 0xbf29c268, v58
	v_add_f32_e32 v91, v91, v95
	v_add_f32_e32 v95, v56, v55
	v_mul_f32_e32 v64, 0xbf29c268, v59
	v_fma_f32 v63, 0xbf3f9e67, v61, -v60
	v_fmac_f32_e32 v60, 0xbf3f9e67, v61
	v_fmamk_f32 v65, v62, 0xbf3f9e67, v64
	v_fma_f32 v64, 0xbf3f9e67, v62, -v64
	v_add_f32_e32 v63, v63, v67
	v_add_f32_e32 v60, v60, v66
	v_mul_f32_e32 v66, 0x3f7e222b, v58
	v_add_f32_e32 v65, v65, v69
	v_add_f32_e32 v64, v64, v68
	v_mul_f32_e32 v68, 0x3f7e222b, v59
	v_fma_f32 v67, 0x3df6dbef, v61, -v66
	v_fmac_f32_e32 v66, 0x3df6dbef, v61
	v_fmamk_f32 v69, v62, 0x3df6dbef, v68
	v_fma_f32 v68, 0x3df6dbef, v62, -v68
	v_add_f32_e32 v67, v67, v71
	v_add_f32_e32 v66, v66, v70
	v_mul_f32_e32 v70, 0xbf52af12, v58
	v_add_f32_e32 v69, v69, v74
	v_add_f32_e32 v68, v68, v72
	v_fma_f32 v71, 0x3f116cb1, v61, -v70
	v_fmac_f32_e32 v70, 0x3f116cb1, v61
	v_add_f32_e32 v72, v71, v75
	v_mul_f32_e32 v71, 0xbf52af12, v59
	v_add_f32_e32 v92, v70, v73
	v_fma_f32 v70, 0x3f116cb1, v62, -v71
	v_fmamk_f32 v74, v62, 0x3f116cb1, v71
	v_add_f32_e32 v80, v70, v80
	v_mul_f32_e32 v70, 0x3e750f2a, v58
	v_add_f32_e32 v82, v74, v82
	v_fma_f32 v71, 0xbf788fa5, v61, -v70
	v_fmac_f32_e32 v70, 0xbf788fa5, v61
	v_add_f32_e32 v83, v71, v83
	v_mul_f32_e32 v71, 0x3e750f2a, v59
	v_add_f32_e32 v81, v70, v81
	v_fma_f32 v70, 0xbf788fa5, v62, -v71
	v_fmamk_f32 v73, v62, 0xbf788fa5, v71
	v_add_f32_e32 v84, v70, v84
	v_mul_f32_e32 v70, 0x3eedf032, v58
	v_mul_f32_e32 v58, 0xbf6f5d39, v58
	v_add_f32_e32 v85, v73, v85
	v_fma_f32 v71, 0x3f62ad3f, v61, -v70
	v_fmac_f32_e32 v70, 0x3f62ad3f, v61
	v_add_f32_e32 v87, v71, v87
	v_mul_f32_e32 v71, 0x3eedf032, v59
	v_add_f32_e32 v86, v70, v86
	v_mul_f32_e32 v59, 0xbf6f5d39, v59
	v_fma_f32 v70, 0x3f62ad3f, v62, -v71
	v_fmamk_f32 v73, v62, 0x3f62ad3f, v71
	v_add_f32_e32 v88, v70, v88
	v_fma_f32 v70, 0xbeb58ec6, v61, -v58
	v_fmac_f32_e32 v58, 0xbeb58ec6, v61
	v_add_f32_e32 v89, v73, v89
	v_add_f32_e32 v90, v70, v90
	v_fmamk_f32 v70, v62, 0xbeb58ec6, v59
	v_add_f32_e32 v93, v58, v26
	v_fma_f32 v26, 0xbeb58ec6, v62, -v59
	v_sub_f32_e32 v62, v54, v57
	v_add_f32_e32 v91, v70, v91
	v_add_f32_e32 v94, v26, v27
	v_mul_f32_e32 v26, 0xbe750f2a, v62
	v_fma_f32 v27, 0xbf788fa5, v95, -v26
	v_fmac_f32_e32 v26, 0xbf788fa5, v95
	v_add_f32_e32 v74, v27, v63
	v_mul_f32_e32 v27, 0xbe750f2a, v97
	v_add_f32_e32 v26, v26, v60
	v_fmamk_f32 v54, v96, 0xbf788fa5, v27
	v_fma_f32 v27, 0xbf788fa5, v96, -v27
	v_add_f32_e32 v75, v54, v65
	v_mul_f32_e32 v54, 0x3eedf032, v62
	v_add_f32_e32 v27, v27, v64
	v_mul_f32_e32 v64, 0x3f7e222b, v62
	v_mul_f32_e32 v65, 0x3f7e222b, v97
	v_fma_f32 v55, 0x3f62ad3f, v95, -v54
	v_fmac_f32_e32 v54, 0x3f62ad3f, v95
	v_add_f32_e32 v70, v55, v67
	v_mul_f32_e32 v55, 0x3eedf032, v97
	v_add_f32_e32 v54, v54, v66
	v_fmamk_f32 v56, v96, 0x3f62ad3f, v55
	v_fma_f32 v55, 0x3f62ad3f, v96, -v55
	v_add_f32_e32 v71, v56, v69
	v_mul_f32_e32 v56, 0xbf29c268, v62
	v_add_f32_e32 v55, v55, v68
	v_fma_f32 v57, 0xbf3f9e67, v95, -v56
	v_fmac_f32_e32 v56, 0xbf3f9e67, v95
	v_add_f32_e32 v72, v57, v72
	v_mul_f32_e32 v57, 0xbf29c268, v97
	v_add_f32_e32 v56, v56, v92
	v_fmamk_f32 v58, v96, 0xbf3f9e67, v57
	v_fma_f32 v57, 0xbf3f9e67, v96, -v57
	v_add_f32_e32 v73, v58, v82
	v_mul_f32_e32 v58, 0x3f52af12, v62
	v_add_f32_e32 v57, v57, v80
	v_lshrrev_b32_e32 v80, 1, v136
	v_fma_f32 v59, 0x3f116cb1, v95, -v58
	v_fmac_f32_e32 v58, 0x3f116cb1, v95
	v_mul_u32_u24_e32 v80, 26, v80
	v_add_f32_e32 v66, v59, v83
	v_mul_f32_e32 v59, 0x3f52af12, v97
	v_or_b32_e32 v80, v80, v79
	v_add_f32_e32 v58, v58, v81
	v_fmamk_f32 v60, v96, 0x3f116cb1, v59
	v_lshlrev_b32_e32 v203, 3, v80
	ds_write2_b64 v203, v[30:31], v[48:49] offset1:2
	ds_write2_b64 v203, v[50:51], v[52:53] offset0:4 offset1:6
	ds_write2_b64 v203, v[44:45], v[46:47] offset0:8 offset1:10
	;; [unrolled: 1-line block ×5, first 2 shown]
	ds_write_b64 v203, v[24:25] offset:192
	v_add_f32_e32 v67, v60, v85
	v_mul_f32_e32 v60, 0xbf6f5d39, v62
	v_lshrrev_b32_e32 v24, 1, v76
	v_fma_f32 v62, 0x3df6dbef, v95, -v64
	v_fmac_f32_e32 v64, 0x3df6dbef, v95
	v_fma_f32 v59, 0x3f116cb1, v96, -v59
	v_fma_f32 v61, 0xbeb58ec6, v95, -v60
	v_mul_u32_u24_e32 v24, 26, v24
	v_fmac_f32_e32 v60, 0xbeb58ec6, v95
	v_add_f32_e32 v62, v62, v90
	v_add_f32_e32 v64, v64, v93
	;; [unrolled: 1-line block ×3, first 2 shown]
	v_mul_f32_e32 v61, 0xbf6f5d39, v97
	v_or_b32_e32 v24, v24, v79
	v_add_f32_e32 v59, v59, v84
	v_add_f32_e32 v60, v60, v86
	v_fmamk_f32 v63, v96, 0xbeb58ec6, v61
	v_fma_f32 v61, 0xbeb58ec6, v96, -v61
	v_lshlrev_b32_e32 v204, 3, v24
	v_add_f32_e32 v69, v63, v89
	v_fmamk_f32 v63, v96, 0x3df6dbef, v65
	v_fma_f32 v65, 0x3df6dbef, v96, -v65
	v_add_f32_e32 v61, v61, v88
	v_add_f32_e32 v63, v63, v91
	v_add_f32_e32 v65, v65, v94
	ds_write2_b64 v204, v[28:29], v[74:75] offset1:2
	ds_write2_b64 v204, v[70:71], v[72:73] offset0:4 offset1:6
	ds_write2_b64 v204, v[66:67], v[68:69] offset0:8 offset1:10
	;; [unrolled: 1-line block ×5, first 2 shown]
	ds_write_b64 v204, v[26:27] offset:192
	v_mul_i32_i24_e32 v28, 0x60, v124
	v_mul_hi_i32_i24_e32 v29, 0x60, v124
	s_waitcnt lgkmcnt(0)
	s_barrier
	buffer_gl0_inv
	v_add_co_u32 v28, s0, s10, v28
	v_add_co_ci_u32_e64 v29, s0, s11, v29, s0
	ds_read2_b64 v[72:75], v199 offset1:52
	ds_read2_b64 v[24:27], v199 offset0:104 offset1:156
	ds_read2_b64 v[30:33], v182 offset0:80 offset1:132
	;; [unrolled: 1-line block ×12, first 2 shown]
	s_clause 0x5
	global_load_dwordx4 v[48:51], v[28:29], off offset:240
	global_load_dwordx4 v[52:55], v[28:29], off offset:224
	;; [unrolled: 1-line block ×6, first 2 shown]
	v_cmp_lt_u16_e64 s0, 25, v121
	v_cndmask_b32_e64 v121, 0, 0x152, s0
	s_waitcnt vmcnt(5) lgkmcnt(4)
	v_mul_f32_e32 v99, v186, v51
	s_waitcnt vmcnt(4)
	v_mul_f32_e32 v98, v88, v53
	s_waitcnt vmcnt(3)
	;; [unrolled: 2-line block ×3, first 2 shown]
	v_mul_f32_e32 v34, v25, v61
	v_mul_f32_e32 v113, v24, v61
	;; [unrolled: 1-line block ×4, first 2 shown]
	v_fmac_f32_e32 v106, v81, v56
	v_fma_f32 v119, v24, v60, -v34
	v_mul_f32_e32 v24, v31, v63
	v_fmac_f32_e32 v110, v31, v62
	v_fmac_f32_e32 v99, v187, v50
	;; [unrolled: 1-line block ×4, first 2 shown]
	v_fma_f32 v112, v30, v62, -v24
	v_mul_f32_e32 v24, v81, v57
	v_mul_f32_e32 v81, v114, v49
	v_fmac_f32_e32 v102, v85, v58
	v_add_f32_e32 v77, v73, v113
	s_waitcnt vmcnt(0) lgkmcnt(3)
	v_mul_f32_e32 v103, v205, v69
	v_fma_f32 v108, v80, v56, -v24
	v_mul_f32_e32 v24, v85, v59
	v_mul_f32_e32 v80, v92, v55
	v_add_f32_e32 v77, v77, v110
	v_fmac_f32_e32 v81, v115, v48
	v_fmac_f32_e32 v103, v206, v68
	v_fma_f32 v104, v84, v58, -v24
	v_mul_f32_e32 v24, v89, v53
	v_fmac_f32_e32 v80, v93, v54
	v_add_f32_e32 v77, v77, v106
	s_waitcnt lgkmcnt(2)
	v_mul_f32_e32 v107, v209, v71
	s_waitcnt lgkmcnt(1)
	v_mul_f32_e32 v111, v213, v65
	v_fma_f32 v100, v88, v52, -v24
	v_mul_f32_e32 v24, v93, v55
	v_add_f32_e32 v77, v77, v102
	v_fmac_f32_e32 v107, v210, v70
	s_waitcnt lgkmcnt(0)
	v_mul_f32_e32 v118, v217, v67
	v_fmac_f32_e32 v111, v214, v64
	v_fma_f32 v96, v92, v54, -v24
	v_mul_f32_e32 v24, v115, v49
	v_add_f32_e32 v77, v77, v98
	v_fmac_f32_e32 v118, v218, v66
	v_fma_f32 v97, v114, v48, -v24
	v_mul_f32_e32 v24, v187, v51
	v_add_f32_e32 v77, v77, v80
	v_add_f32_e32 v115, v113, v118
	v_sub_f32_e32 v113, v113, v118
	v_fma_f32 v101, v186, v50, -v24
	v_mul_f32_e32 v24, v206, v69
	v_add_f32_e32 v77, v77, v81
	v_mul_f32_e32 v130, 0xbf52af12, v113
	v_mul_f32_e32 v134, 0xbf7e222b, v113
	;; [unrolled: 1-line block ×3, first 2 shown]
	v_fma_f32 v105, v205, v68, -v24
	v_mul_f32_e32 v24, v210, v71
	v_add_f32_e32 v77, v77, v99
	v_mul_f32_e32 v202, 0xbf29c268, v113
	v_fma_f32 v109, v209, v70, -v24
	v_mul_f32_e32 v24, v214, v65
	v_add_f32_e32 v77, v77, v103
	v_fma_f32 v114, v213, v64, -v24
	v_mul_f32_e32 v24, v218, v67
	v_add_f32_e32 v77, v77, v107
	v_fma_f32 v128, v217, v66, -v24
	v_and_b32_e32 v24, 0xff, v76
	v_add_f32_e32 v77, v77, v111
	v_mul_lo_u16 v24, 0x4f, v24
	v_add_f32_e32 v77, v77, v118
	v_mul_f32_e32 v118, 0xbeedf032, v113
	v_mul_f32_e32 v113, 0xbe750f2a, v113
	v_lshrrev_b16 v123, 11, v24
	v_mul_lo_u16 v24, v123, 26
	v_sub_nc_u16 v24, v76, v24
	v_and_b32_e32 v122, 0xff, v24
	v_mad_u64_u32 v[34:35], null, 0x60, v122, s[10:11]
	s_clause 0x3
	global_load_dwordx4 v[28:31], v[34:35], off offset:240
	global_load_dwordx4 v[36:39], v[34:35], off offset:224
	;; [unrolled: 1-line block ×4, first 2 shown]
	s_waitcnt vmcnt(2)
	v_mul_f32_e32 v85, v90, v37
	s_waitcnt vmcnt(1)
	v_mul_f32_e32 v93, v82, v41
	;; [unrolled: 2-line block ×3, first 2 shown]
	v_mul_f32_e32 v187, v26, v45
	v_mul_f32_e32 v126, v32, v47
	;; [unrolled: 1-line block ×4, first 2 shown]
	v_fma_f32 v186, v26, v44, -v24
	v_mul_f32_e32 v24, v33, v47
	v_fmac_f32_e32 v187, v27, v44
	v_fmac_f32_e32 v126, v33, v46
	;; [unrolled: 1-line block ×4, first 2 shown]
	v_fma_f32 v125, v32, v46, -v24
	v_mul_f32_e32 v24, v83, v41
	v_mul_f32_e32 v83, v116, v29
	v_fmac_f32_e32 v85, v91, v36
	v_fmac_f32_e32 v79, v95, v38
	v_fma_f32 v92, v82, v40, -v24
	v_mul_f32_e32 v24, v87, v43
	v_mul_f32_e32 v87, v188, v31
	v_fmac_f32_e32 v83, v117, v28
	v_fma_f32 v88, v86, v42, -v24
	v_mul_f32_e32 v24, v91, v37
	v_fmac_f32_e32 v87, v189, v30
	v_fma_f32 v84, v90, v36, -v24
	v_mul_f32_e32 v24, v95, v39
	v_fma_f32 v78, v94, v38, -v24
	v_mul_f32_e32 v24, v117, v29
	v_sub_f32_e32 v117, v119, v128
	v_fma_f32 v82, v116, v28, -v24
	v_mul_f32_e32 v24, v189, v31
	v_add_f32_e32 v116, v119, v128
	v_mul_f32_e32 v132, 0xbf52af12, v117
	v_mul_f32_e32 v190, 0xbf7e222b, v117
	;; [unrolled: 1-line block ×3, first 2 shown]
	v_fma_f32 v86, v188, v30, -v24
	s_clause 0x1
	global_load_dwordx4 v[24:27], v[34:35], off offset:272
	global_load_dwordx4 v[32:35], v[34:35], off offset:256
	v_fma_f32 v131, 0x3f116cb1, v116, -v130
	v_fmac_f32_e32 v130, 0x3f116cb1, v116
	v_fma_f32 v135, 0x3df6dbef, v116, -v134
	v_fmac_f32_e32 v134, 0x3df6dbef, v116
	v_fma_f32 v194, 0xbeb58ec6, v116, -v192
	v_fmac_f32_e32 v192, 0xbeb58ec6, v116
	v_fma_f32 v205, 0xbf3f9e67, v116, -v202
	v_mul_f32_e32 v206, 0xbf29c268, v117
	v_fmac_f32_e32 v202, 0xbf3f9e67, v116
	v_add_f32_e32 v131, v72, v131
	v_fmamk_f32 v133, v115, 0x3f116cb1, v132
	v_add_f32_e32 v130, v72, v130
	v_fma_f32 v132, 0x3f116cb1, v115, -v132
	v_add_f32_e32 v135, v72, v135
	v_fmamk_f32 v191, v115, 0x3df6dbef, v190
	v_add_f32_e32 v134, v72, v134
	v_fma_f32 v190, 0x3df6dbef, v115, -v190
	;; [unrolled: 4-line block ×3, first 2 shown]
	v_add_f32_e32 v205, v72, v205
	v_add_f32_e32 v202, v72, v202
	;; [unrolled: 1-line block ×8, first 2 shown]
	s_waitcnt vmcnt(0)
	s_barrier
	buffer_gl0_inv
	v_mul_f32_e32 v185, v215, v25
	v_mul_f32_e32 v76, v208, v33
	;; [unrolled: 1-line block ×5, first 2 shown]
	v_fmac_f32_e32 v185, v216, v24
	v_fma_f32 v90, v207, v32, -v76
	v_mul_f32_e32 v76, v212, v35
	v_fmac_f32_e32 v91, v208, v32
	v_fma_f32 v208, 0xbf788fa5, v116, -v113
	v_fmac_f32_e32 v113, 0xbf788fa5, v116
	v_fmamk_f32 v207, v115, 0xbf3f9e67, v206
	v_fma_f32 v94, v211, v34, -v76
	v_mul_f32_e32 v76, v216, v25
	v_fma_f32 v206, 0xbf3f9e67, v115, -v206
	v_add_f32_e32 v208, v72, v208
	v_add_f32_e32 v207, v73, v207
	v_fmac_f32_e32 v95, v212, v34
	v_fma_f32 v127, v215, v24, -v76
	v_mul_f32_e32 v76, v220, v27
	v_add_f32_e32 v206, v73, v206
	v_fmac_f32_e32 v189, v220, v26
	v_fma_f32 v188, v219, v26, -v76
	v_add_f32_e32 v76, v72, v119
	v_fma_f32 v119, 0x3f62ad3f, v116, -v118
	v_fmac_f32_e32 v118, 0x3f62ad3f, v116
	v_add_f32_e32 v76, v76, v112
	v_add_f32_e32 v119, v72, v119
	;; [unrolled: 1-line block ×14, first 2 shown]
	v_mul_f32_e32 v128, 0xbeedf032, v117
	v_mul_f32_e32 v117, 0xbe750f2a, v117
	v_fmamk_f32 v129, v115, 0x3f62ad3f, v128
	v_fma_f32 v128, 0x3f62ad3f, v115, -v128
	v_fmamk_f32 v209, v115, 0xbf788fa5, v117
	v_fma_f32 v113, 0xbf788fa5, v115, -v117
	v_add_f32_e32 v115, v110, v111
	v_sub_f32_e32 v110, v110, v111
	v_add_f32_e32 v129, v73, v129
	v_add_f32_e32 v128, v73, v128
	v_add_f32_e32 v209, v73, v209
	v_add_f32_e32 v73, v73, v113
	v_add_f32_e32 v113, v112, v114
	v_mul_f32_e32 v111, 0xbf52af12, v110
	v_sub_f32_e32 v112, v112, v114
	v_fma_f32 v114, 0x3f116cb1, v113, -v111
	v_fmac_f32_e32 v111, 0x3f116cb1, v113
	v_mul_f32_e32 v116, 0xbf52af12, v112
	v_add_f32_e32 v114, v114, v119
	v_add_f32_e32 v111, v111, v118
	v_mul_f32_e32 v118, 0xbf6f5d39, v110
	v_fmamk_f32 v117, v115, 0x3f116cb1, v116
	v_fma_f32 v116, 0x3f116cb1, v115, -v116
	v_fma_f32 v119, 0xbeb58ec6, v113, -v118
	v_fmac_f32_e32 v118, 0xbeb58ec6, v113
	v_add_f32_e32 v116, v116, v128
	v_mul_f32_e32 v128, 0xbf6f5d39, v112
	v_add_f32_e32 v117, v117, v129
	v_add_f32_e32 v119, v119, v131
	v_add_f32_e32 v118, v118, v130
	v_mul_f32_e32 v130, 0xbe750f2a, v110
	v_fmamk_f32 v129, v115, 0xbeb58ec6, v128
	v_fma_f32 v128, 0xbeb58ec6, v115, -v128
	v_fma_f32 v131, 0xbf788fa5, v113, -v130
	v_fmac_f32_e32 v130, 0xbf788fa5, v113
	v_add_f32_e32 v128, v128, v132
	v_mul_f32_e32 v132, 0xbe750f2a, v112
	v_add_f32_e32 v129, v129, v133
	;; [unrolled: 10-line block ×3, first 2 shown]
	v_add_f32_e32 v135, v135, v194
	v_add_f32_e32 v134, v134, v192
	v_mul_f32_e32 v192, 0x3f7e222b, v110
	v_fmamk_f32 v191, v115, 0xbf3f9e67, v190
	v_fma_f32 v190, 0xbf3f9e67, v115, -v190
	v_mul_f32_e32 v110, 0x3eedf032, v110
	v_fma_f32 v194, 0x3df6dbef, v113, -v192
	v_fmac_f32_e32 v192, 0x3df6dbef, v113
	v_add_f32_e32 v190, v190, v195
	v_mul_f32_e32 v195, 0x3f7e222b, v112
	v_mul_f32_e32 v112, 0x3eedf032, v112
	v_add_f32_e32 v194, v194, v205
	v_add_f32_e32 v192, v192, v202
	v_fma_f32 v202, 0x3f62ad3f, v113, -v110
	v_fmac_f32_e32 v110, 0x3f62ad3f, v113
	v_fmamk_f32 v205, v115, 0x3f62ad3f, v112
	v_add_f32_e32 v191, v191, v198
	v_fmamk_f32 v198, v115, 0x3df6dbef, v195
	v_fma_f32 v195, 0x3df6dbef, v115, -v195
	v_add_f32_e32 v72, v110, v72
	v_fma_f32 v110, 0x3f62ad3f, v115, -v112
	v_add_f32_e32 v112, v106, v107
	v_sub_f32_e32 v106, v106, v107
	v_add_f32_e32 v195, v195, v206
	v_add_f32_e32 v202, v202, v208
	;; [unrolled: 1-line block ×4, first 2 shown]
	v_sub_f32_e32 v108, v108, v109
	v_mul_f32_e32 v107, 0xbf7e222b, v106
	v_add_f32_e32 v198, v198, v207
	v_add_f32_e32 v205, v205, v209
	v_mul_f32_e32 v113, 0xbf7e222b, v108
	v_fma_f32 v109, 0x3df6dbef, v110, -v107
	v_fmac_f32_e32 v107, 0x3df6dbef, v110
	v_add_f32_e32 v109, v109, v114
	v_fmamk_f32 v114, v112, 0x3df6dbef, v113
	v_add_f32_e32 v107, v107, v111
	v_fma_f32 v111, 0x3df6dbef, v112, -v113
	v_mul_f32_e32 v113, 0xbe750f2a, v106
	v_add_f32_e32 v114, v114, v117
	v_add_f32_e32 v111, v111, v116
	v_fma_f32 v115, 0xbf788fa5, v110, -v113
	v_fmac_f32_e32 v113, 0xbf788fa5, v110
	v_mul_f32_e32 v116, 0xbe750f2a, v108
	v_add_f32_e32 v115, v115, v119
	v_add_f32_e32 v113, v113, v118
	v_mul_f32_e32 v118, 0x3f6f5d39, v106
	v_fmamk_f32 v117, v112, 0xbf788fa5, v116
	v_fma_f32 v116, 0xbf788fa5, v112, -v116
	v_fma_f32 v119, 0xbeb58ec6, v110, -v118
	v_fmac_f32_e32 v118, 0xbeb58ec6, v110
	v_add_f32_e32 v116, v116, v128
	v_mul_f32_e32 v128, 0x3f6f5d39, v108
	v_add_f32_e32 v117, v117, v129
	v_add_f32_e32 v119, v119, v131
	;; [unrolled: 1-line block ×3, first 2 shown]
	v_mul_f32_e32 v130, 0x3eedf032, v106
	v_fmamk_f32 v129, v112, 0xbeb58ec6, v128
	v_fma_f32 v128, 0xbeb58ec6, v112, -v128
	v_fma_f32 v131, 0x3f62ad3f, v110, -v130
	v_fmac_f32_e32 v130, 0x3f62ad3f, v110
	v_add_f32_e32 v128, v128, v132
	v_mul_f32_e32 v132, 0x3eedf032, v108
	v_add_f32_e32 v129, v129, v133
	v_add_f32_e32 v131, v131, v135
	;; [unrolled: 1-line block ×3, first 2 shown]
	v_mul_f32_e32 v134, 0xbf52af12, v106
	v_fmamk_f32 v133, v112, 0x3f62ad3f, v132
	v_fma_f32 v132, 0x3f62ad3f, v112, -v132
	v_mul_f32_e32 v106, 0xbf29c268, v106
	v_fma_f32 v135, 0x3f116cb1, v110, -v134
	v_fmac_f32_e32 v134, 0x3f116cb1, v110
	v_add_f32_e32 v132, v132, v190
	v_mul_f32_e32 v190, 0xbf52af12, v108
	v_mul_f32_e32 v108, 0xbf29c268, v108
	v_add_f32_e32 v135, v135, v194
	v_add_f32_e32 v134, v134, v192
	v_fma_f32 v192, 0xbf3f9e67, v110, -v106
	v_fmac_f32_e32 v106, 0xbf3f9e67, v110
	v_fmamk_f32 v194, v112, 0xbf3f9e67, v108
	v_add_f32_e32 v133, v133, v191
	v_fmamk_f32 v191, v112, 0x3f116cb1, v190
	v_fma_f32 v190, 0x3f116cb1, v112, -v190
	v_add_f32_e32 v72, v106, v72
	v_fma_f32 v106, 0xbf3f9e67, v112, -v108
	v_add_f32_e32 v108, v102, v103
	v_sub_f32_e32 v102, v102, v103
	v_add_f32_e32 v190, v190, v195
	v_add_f32_e32 v192, v192, v202
	;; [unrolled: 1-line block ×4, first 2 shown]
	v_mul_f32_e32 v103, 0xbf6f5d39, v102
	v_sub_f32_e32 v104, v104, v105
	v_add_f32_e32 v191, v191, v198
	v_add_f32_e32 v194, v194, v205
	v_fma_f32 v105, 0xbeb58ec6, v106, -v103
	v_fmac_f32_e32 v103, 0xbeb58ec6, v106
	v_mul_f32_e32 v112, 0x3f29c268, v104
	v_add_f32_e32 v105, v105, v109
	v_mul_f32_e32 v109, 0xbf6f5d39, v104
	v_add_f32_e32 v103, v103, v107
	v_fmamk_f32 v110, v108, 0xbeb58ec6, v109
	v_fma_f32 v107, 0xbeb58ec6, v108, -v109
	v_mul_f32_e32 v109, 0x3f29c268, v102
	v_add_f32_e32 v110, v110, v114
	v_add_f32_e32 v107, v107, v111
	v_fma_f32 v111, 0xbf3f9e67, v106, -v109
	v_fmac_f32_e32 v109, 0xbf3f9e67, v106
	v_fmamk_f32 v114, v108, 0xbf3f9e67, v112
	v_fma_f32 v112, 0xbf3f9e67, v108, -v112
	v_add_f32_e32 v111, v111, v115
	v_add_f32_e32 v109, v109, v113
	v_mul_f32_e32 v113, 0x3eedf032, v102
	v_add_f32_e32 v112, v112, v116
	v_mul_f32_e32 v116, 0x3eedf032, v104
	v_add_f32_e32 v114, v114, v117
	v_fma_f32 v115, 0x3f62ad3f, v106, -v113
	v_fmac_f32_e32 v113, 0x3f62ad3f, v106
	v_fmamk_f32 v117, v108, 0x3f62ad3f, v116
	v_fma_f32 v116, 0x3f62ad3f, v108, -v116
	v_add_f32_e32 v115, v115, v119
	v_add_f32_e32 v113, v113, v118
	v_mul_f32_e32 v118, 0xbf7e222b, v102
	v_add_f32_e32 v116, v116, v128
	v_mul_f32_e32 v128, 0xbf7e222b, v104
	v_add_f32_e32 v117, v117, v129
	v_fma_f32 v119, 0x3df6dbef, v106, -v118
	v_fmac_f32_e32 v118, 0x3df6dbef, v106
	v_fmamk_f32 v129, v108, 0x3df6dbef, v128
	v_fma_f32 v128, 0x3df6dbef, v108, -v128
	v_add_f32_e32 v119, v119, v131
	v_add_f32_e32 v118, v118, v130
	v_mul_f32_e32 v130, 0x3e750f2a, v102
	v_mul_f32_e32 v102, 0x3f52af12, v102
	v_add_f32_e32 v128, v128, v132
	v_mul_f32_e32 v132, 0x3e750f2a, v104
	v_mul_f32_e32 v104, 0x3f52af12, v104
	v_fma_f32 v131, 0xbf788fa5, v106, -v130
	v_fmac_f32_e32 v130, 0xbf788fa5, v106
	v_add_f32_e32 v129, v129, v133
	v_fmamk_f32 v133, v108, 0xbf788fa5, v132
	v_fma_f32 v132, 0xbf788fa5, v108, -v132
	v_add_f32_e32 v131, v131, v135
	v_add_f32_e32 v130, v130, v134
	v_fma_f32 v134, 0x3f116cb1, v106, -v102
	v_fmac_f32_e32 v102, 0x3f116cb1, v106
	v_fmamk_f32 v135, v108, 0x3f116cb1, v104
	v_add_f32_e32 v132, v132, v190
	v_add_f32_e32 v133, v133, v191
	;; [unrolled: 1-line block ×4, first 2 shown]
	v_fma_f32 v102, 0x3f116cb1, v108, -v104
	v_add_f32_e32 v104, v98, v99
	v_sub_f32_e32 v98, v98, v99
	v_add_f32_e32 v135, v135, v194
	v_add_f32_e32 v73, v102, v73
	;; [unrolled: 1-line block ×3, first 2 shown]
	v_mul_f32_e32 v99, 0xbf29c268, v98
	v_sub_f32_e32 v100, v100, v101
	v_fma_f32 v101, 0xbf3f9e67, v102, -v99
	v_fmac_f32_e32 v99, 0xbf3f9e67, v102
	v_mul_f32_e32 v108, 0x3f7e222b, v100
	v_add_f32_e32 v101, v101, v105
	v_mul_f32_e32 v105, 0xbf29c268, v100
	v_add_f32_e32 v99, v99, v103
	v_fma_f32 v103, 0xbf3f9e67, v104, -v105
	v_fmamk_f32 v106, v104, 0xbf3f9e67, v105
	v_add_f32_e32 v105, v103, v107
	v_mul_f32_e32 v103, 0x3f7e222b, v98
	v_add_f32_e32 v106, v106, v110
	v_fmamk_f32 v110, v104, 0x3df6dbef, v108
	v_fma_f32 v107, 0x3df6dbef, v102, -v103
	v_fmac_f32_e32 v103, 0x3df6dbef, v102
	v_add_f32_e32 v110, v110, v114
	v_add_f32_e32 v107, v107, v111
	;; [unrolled: 1-line block ×3, first 2 shown]
	v_fma_f32 v103, 0x3df6dbef, v104, -v108
	v_add_f32_e32 v108, v103, v112
	v_mul_f32_e32 v103, 0xbf52af12, v98
	v_mul_f32_e32 v112, 0xbf52af12, v100
	v_fma_f32 v111, 0x3f116cb1, v102, -v103
	v_fmac_f32_e32 v103, 0x3f116cb1, v102
	v_fmamk_f32 v114, v104, 0x3f116cb1, v112
	v_add_f32_e32 v111, v111, v115
	v_add_f32_e32 v113, v103, v113
	v_fma_f32 v103, 0x3f116cb1, v104, -v112
	v_add_f32_e32 v114, v114, v117
	v_add_f32_e32 v112, v103, v116
	v_mul_f32_e32 v103, 0x3e750f2a, v98
	v_mul_f32_e32 v116, 0x3e750f2a, v100
	v_fma_f32 v115, 0xbf788fa5, v102, -v103
	v_fmac_f32_e32 v103, 0xbf788fa5, v102
	v_fmamk_f32 v117, v104, 0xbf788fa5, v116
	v_add_f32_e32 v115, v115, v119
	v_add_f32_e32 v118, v103, v118
	v_fma_f32 v103, 0xbf788fa5, v104, -v116
	v_add_f32_e32 v117, v117, v129
	v_add_f32_e32 v116, v103, v128
	v_mul_f32_e32 v103, 0x3eedf032, v98
	v_mul_f32_e32 v128, 0x3eedf032, v100
	;; [unrolled: 1-line block ×4, first 2 shown]
	v_fma_f32 v119, 0x3f62ad3f, v102, -v103
	v_fmac_f32_e32 v103, 0x3f62ad3f, v102
	v_fmamk_f32 v129, v104, 0x3f62ad3f, v128
	v_add_f32_e32 v119, v119, v131
	v_add_f32_e32 v130, v103, v130
	v_fma_f32 v103, 0x3f62ad3f, v104, -v128
	v_add_f32_e32 v129, v129, v133
	v_add_f32_e32 v133, v96, v97
	;; [unrolled: 1-line block ×3, first 2 shown]
	v_fma_f32 v103, 0xbeb58ec6, v102, -v98
	v_fmac_f32_e32 v98, 0xbeb58ec6, v102
	v_add_f32_e32 v131, v103, v134
	v_fmamk_f32 v103, v104, 0xbeb58ec6, v100
	v_add_f32_e32 v134, v80, v81
	v_sub_f32_e32 v80, v80, v81
	v_add_f32_e32 v72, v98, v72
	v_fma_f32 v98, 0xbeb58ec6, v104, -v100
	v_add_f32_e32 v132, v103, v135
	v_sub_f32_e32 v135, v96, v97
	v_mul_f32_e32 v81, 0xbe750f2a, v80
	v_add_f32_e32 v73, v98, v73
	v_mul_f32_e32 v97, 0xbe750f2a, v135
	v_fma_f32 v96, 0xbf788fa5, v133, -v81
	v_fmac_f32_e32 v81, 0xbf788fa5, v133
	v_add_f32_e32 v102, v96, v101
	v_fmamk_f32 v96, v134, 0xbf788fa5, v97
	v_mul_f32_e32 v101, 0xbf29c268, v135
	v_add_f32_e32 v103, v96, v106
	v_add_f32_e32 v96, v81, v99
	v_fma_f32 v81, 0xbf788fa5, v134, -v97
	v_mul_f32_e32 v99, 0x3eedf032, v135
	v_add_f32_e32 v97, v81, v105
	v_mul_f32_e32 v81, 0x3eedf032, v80
	v_fma_f32 v98, 0x3f62ad3f, v133, -v81
	v_fmac_f32_e32 v81, 0x3f62ad3f, v133
	v_add_f32_e32 v104, v98, v107
	v_fmamk_f32 v98, v134, 0x3f62ad3f, v99
	v_add_f32_e32 v105, v98, v110
	v_add_f32_e32 v98, v81, v109
	v_fma_f32 v81, 0x3f62ad3f, v134, -v99
	v_add_f32_e32 v99, v81, v108
	v_mul_f32_e32 v81, 0xbf29c268, v80
	v_fma_f32 v100, 0xbf3f9e67, v133, -v81
	v_fmac_f32_e32 v81, 0xbf3f9e67, v133
	v_add_f32_e32 v106, v100, v111
	v_fmamk_f32 v100, v134, 0xbf3f9e67, v101
	v_mul_f32_e32 v111, 0x3f52af12, v135
	v_add_f32_e32 v107, v100, v114
	v_add_f32_e32 v100, v81, v113
	v_fma_f32 v81, 0xbf3f9e67, v134, -v101
	v_fmamk_f32 v109, v134, 0x3f116cb1, v111
	v_add_f32_e32 v101, v81, v112
	v_mul_f32_e32 v81, 0x3f52af12, v80
	v_add_f32_e32 v109, v109, v117
	v_fma_f32 v108, 0x3f116cb1, v133, -v81
	v_fmac_f32_e32 v81, 0x3f116cb1, v133
	v_add_f32_e32 v108, v108, v115
	v_add_f32_e32 v110, v81, v118
	v_fma_f32 v81, 0x3f116cb1, v134, -v111
	v_mul_f32_e32 v115, 0xbf6f5d39, v135
	v_add_f32_e32 v111, v81, v116
	v_mul_f32_e32 v81, 0xbf6f5d39, v80
	v_mul_f32_e32 v80, 0x3f7e222b, v80
	v_fmamk_f32 v113, v134, 0xbeb58ec6, v115
	v_fma_f32 v112, 0xbeb58ec6, v133, -v81
	v_fmac_f32_e32 v81, 0xbeb58ec6, v133
	v_add_f32_e32 v113, v113, v129
	v_sub_f32_e32 v129, v187, v189
	v_add_f32_e32 v112, v112, v119
	v_add_f32_e32 v114, v81, v130
	v_fma_f32 v81, 0xbeb58ec6, v134, -v115
	v_mul_f32_e32 v130, 0xbeedf032, v129
	v_mul_f32_e32 v192, 0xbf6f5d39, v129
	;; [unrolled: 1-line block ×3, first 2 shown]
	v_add_f32_e32 v115, v81, v128
	v_fma_f32 v81, 0x3df6dbef, v133, -v80
	v_fmac_f32_e32 v80, 0x3df6dbef, v133
	v_sub_f32_e32 v128, v186, v188
	v_add_f32_e32 v116, v81, v131
	v_mul_f32_e32 v81, 0x3f7e222b, v135
	v_add_f32_e32 v118, v80, v72
	v_mul_f32_e32 v190, 0xbf7e222b, v128
	v_mul_f32_e32 v195, 0xbf6f5d39, v128
	;; [unrolled: 1-line block ×3, first 2 shown]
	v_fma_f32 v72, 0x3df6dbef, v134, -v81
	v_fmamk_f32 v117, v134, 0x3df6dbef, v81
	v_mul_f32_e32 v134, 0xbf52af12, v129
	v_add_f32_e32 v119, v72, v73
	v_add_f32_e32 v72, v74, v186
	;; [unrolled: 1-line block ×4, first 2 shown]
	v_mul_f32_e32 v132, 0xbeedf032, v128
	v_add_f32_e32 v72, v72, v125
	v_add_f32_e32 v73, v73, v126
	;; [unrolled: 1-line block ×24, first 2 shown]
	v_mul_f32_e32 v186, 0xbf52af12, v128
	v_mul_f32_e32 v128, 0xbe750f2a, v128
	;; [unrolled: 1-line block ×4, first 2 shown]
	v_fmamk_f32 v133, v73, 0x3f62ad3f, v132
	v_fma_f32 v132, 0x3f62ad3f, v73, -v132
	v_fmamk_f32 v187, v73, 0x3f116cb1, v186
	v_fma_f32 v186, 0x3f116cb1, v73, -v186
	;; [unrolled: 2-line block ×6, first 2 shown]
	v_fma_f32 v131, 0x3f62ad3f, v72, -v130
	v_add_f32_e32 v133, v75, v133
	v_fmac_f32_e32 v130, 0x3f62ad3f, v72
	v_add_f32_e32 v132, v75, v132
	v_fma_f32 v135, 0x3f116cb1, v72, -v134
	v_add_f32_e32 v187, v75, v187
	v_fmac_f32_e32 v134, 0x3f116cb1, v72
	v_add_f32_e32 v186, v75, v186
	;; [unrolled: 4-line block ×6, first 2 shown]
	v_add_f32_e32 v75, v126, v185
	v_sub_f32_e32 v126, v126, v185
	v_add_f32_e32 v131, v74, v131
	v_add_f32_e32 v130, v74, v130
	;; [unrolled: 1-line block ×13, first 2 shown]
	v_sub_f32_e32 v125, v125, v127
	v_mul_f32_e32 v127, 0xbf52af12, v126
	v_mul_f32_e32 v129, 0xbf52af12, v125
	v_fma_f32 v128, 0x3f116cb1, v74, -v127
	v_fmac_f32_e32 v127, 0x3f116cb1, v74
	v_add_f32_e32 v128, v128, v131
	v_fmamk_f32 v131, v75, 0x3f116cb1, v129
	v_add_f32_e32 v127, v127, v130
	v_fma_f32 v129, 0x3f116cb1, v75, -v129
	v_mul_f32_e32 v130, 0xbf6f5d39, v126
	v_add_f32_e32 v131, v131, v133
	v_mul_f32_e32 v133, 0xbf6f5d39, v125
	v_add_f32_e32 v129, v129, v132
	v_fma_f32 v132, 0xbeb58ec6, v74, -v130
	v_fmac_f32_e32 v130, 0xbeb58ec6, v74
	v_add_f32_e32 v132, v132, v135
	v_fmamk_f32 v135, v75, 0xbeb58ec6, v133
	v_add_f32_e32 v130, v130, v134
	v_fma_f32 v133, 0xbeb58ec6, v75, -v133
	v_mul_f32_e32 v134, 0xbe750f2a, v126
	v_add_f32_e32 v135, v135, v187
	v_add_f32_e32 v133, v133, v186
	v_fma_f32 v185, 0xbf788fa5, v74, -v134
	v_mul_f32_e32 v186, 0xbe750f2a, v125
	v_fmac_f32_e32 v134, 0xbf788fa5, v74
	v_add_f32_e32 v185, v185, v189
	v_fmamk_f32 v187, v75, 0xbf788fa5, v186
	v_add_f32_e32 v134, v134, v188
	v_fma_f32 v186, 0xbf788fa5, v75, -v186
	v_mul_f32_e32 v188, 0x3f29c268, v126
	v_add_f32_e32 v187, v187, v191
	v_add_f32_e32 v186, v186, v190
	v_fma_f32 v189, 0xbf3f9e67, v74, -v188
	v_mul_f32_e32 v190, 0x3f29c268, v125
	v_fmac_f32_e32 v188, 0xbf3f9e67, v74
	v_add_f32_e32 v189, v189, v194
	v_fmamk_f32 v191, v75, 0xbf3f9e67, v190
	v_add_f32_e32 v188, v188, v192
	v_fma_f32 v190, 0xbf3f9e67, v75, -v190
	v_mul_f32_e32 v192, 0x3f7e222b, v126
	v_mul_f32_e32 v126, 0x3eedf032, v126
	v_add_f32_e32 v191, v191, v198
	v_add_f32_e32 v190, v190, v195
	v_fma_f32 v194, 0x3df6dbef, v74, -v192
	v_mul_f32_e32 v195, 0x3f7e222b, v125
	v_fmac_f32_e32 v192, 0x3df6dbef, v74
	v_mul_f32_e32 v125, 0x3eedf032, v125
	v_add_f32_e32 v194, v194, v205
	v_fmamk_f32 v198, v75, 0x3df6dbef, v195
	v_add_f32_e32 v192, v192, v202
	v_fma_f32 v195, 0x3df6dbef, v75, -v195
	v_fma_f32 v202, 0x3f62ad3f, v74, -v126
	v_fmamk_f32 v205, v75, 0x3f62ad3f, v125
	v_fmac_f32_e32 v126, 0x3f62ad3f, v74
	v_fma_f32 v74, 0x3f62ad3f, v75, -v125
	v_add_f32_e32 v75, v93, v95
	v_sub_f32_e32 v93, v93, v95
	v_add_f32_e32 v195, v195, v206
	v_add_f32_e32 v72, v126, v72
	;; [unrolled: 1-line block ×4, first 2 shown]
	v_sub_f32_e32 v92, v92, v94
	v_mul_f32_e32 v94, 0xbf7e222b, v93
	v_add_f32_e32 v198, v198, v207
	v_add_f32_e32 v202, v202, v208
	v_add_f32_e32 v205, v205, v209
	v_mul_f32_e32 v125, 0xbf7e222b, v92
	v_fma_f32 v95, 0x3df6dbef, v74, -v94
	v_fmac_f32_e32 v94, 0x3df6dbef, v74
	v_fmamk_f32 v126, v75, 0x3df6dbef, v125
	v_fma_f32 v125, 0x3df6dbef, v75, -v125
	v_add_f32_e32 v94, v94, v127
	v_mul_f32_e32 v127, 0xbe750f2a, v93
	v_add_f32_e32 v95, v95, v128
	v_add_f32_e32 v126, v126, v131
	v_add_f32_e32 v125, v125, v129
	v_mul_f32_e32 v129, 0xbe750f2a, v92
	v_fma_f32 v128, 0xbf788fa5, v74, -v127
	v_fmac_f32_e32 v127, 0xbf788fa5, v74
	v_fmamk_f32 v131, v75, 0xbf788fa5, v129
	v_fma_f32 v129, 0xbf788fa5, v75, -v129
	v_add_f32_e32 v127, v127, v130
	v_mul_f32_e32 v130, 0x3f6f5d39, v93
	v_add_f32_e32 v128, v128, v132
	v_add_f32_e32 v131, v131, v135
	v_add_f32_e32 v129, v129, v133
	v_mul_f32_e32 v133, 0x3f6f5d39, v92
	v_fma_f32 v132, 0xbeb58ec6, v74, -v130
	v_fmac_f32_e32 v130, 0xbeb58ec6, v74
	v_fmamk_f32 v135, v75, 0xbeb58ec6, v133
	v_fma_f32 v133, 0xbeb58ec6, v75, -v133
	v_add_f32_e32 v130, v130, v134
	v_mul_f32_e32 v134, 0x3eedf032, v93
	v_add_f32_e32 v132, v132, v185
	v_add_f32_e32 v135, v135, v187
	v_add_f32_e32 v133, v133, v186
	v_mul_f32_e32 v186, 0x3eedf032, v92
	v_fma_f32 v185, 0x3f62ad3f, v74, -v134
	v_fmac_f32_e32 v134, 0x3f62ad3f, v74
	v_fmamk_f32 v187, v75, 0x3f62ad3f, v186
	v_fma_f32 v186, 0x3f62ad3f, v75, -v186
	v_add_f32_e32 v134, v134, v188
	v_mul_f32_e32 v188, 0xbf52af12, v93
	v_add_f32_e32 v185, v185, v189
	v_mul_f32_e32 v93, 0xbf29c268, v93
	v_add_f32_e32 v186, v186, v190
	v_mul_f32_e32 v190, 0xbf52af12, v92
	v_fma_f32 v189, 0x3f116cb1, v74, -v188
	v_fmac_f32_e32 v188, 0x3f116cb1, v74
	v_mul_f32_e32 v92, 0xbf29c268, v92
	v_add_f32_e32 v187, v187, v191
	v_fmamk_f32 v191, v75, 0x3f116cb1, v190
	v_add_f32_e32 v189, v189, v194
	v_add_f32_e32 v188, v188, v192
	v_fma_f32 v190, 0x3f116cb1, v75, -v190
	v_fma_f32 v192, 0xbf3f9e67, v74, -v93
	v_fmamk_f32 v194, v75, 0xbf3f9e67, v92
	v_fmac_f32_e32 v93, 0xbf3f9e67, v74
	v_fma_f32 v74, 0xbf3f9e67, v75, -v92
	v_add_f32_e32 v75, v89, v91
	v_sub_f32_e32 v89, v89, v91
	v_add_f32_e32 v190, v190, v195
	v_add_f32_e32 v72, v93, v72
	;; [unrolled: 1-line block ×4, first 2 shown]
	v_sub_f32_e32 v88, v88, v90
	v_mul_f32_e32 v90, 0xbf6f5d39, v89
	v_add_f32_e32 v191, v191, v198
	v_add_f32_e32 v192, v192, v202
	;; [unrolled: 1-line block ×3, first 2 shown]
	v_mul_f32_e32 v92, 0xbf6f5d39, v88
	v_fma_f32 v91, 0xbeb58ec6, v74, -v90
	v_fmac_f32_e32 v90, 0xbeb58ec6, v74
	v_sub_f32_e32 v198, v78, v82
	v_add_f32_e32 v195, v79, v83
	v_fmamk_f32 v93, v75, 0xbeb58ec6, v92
	v_fma_f32 v92, 0xbeb58ec6, v75, -v92
	v_add_f32_e32 v90, v90, v94
	v_mul_f32_e32 v94, 0x3f29c268, v89
	v_add_f32_e32 v91, v91, v95
	v_add_f32_e32 v93, v93, v126
	;; [unrolled: 1-line block ×3, first 2 shown]
	v_mul_f32_e32 v125, 0x3f29c268, v88
	v_fma_f32 v95, 0xbf3f9e67, v74, -v94
	v_fmac_f32_e32 v94, 0xbf3f9e67, v74
	v_add_lshl_u32 v202, v124, v121, 3
	ds_write2_b64 v202, v[76:77], v[102:103] offset1:26
	ds_write2_b64 v202, v[104:105], v[106:107] offset0:52 offset1:78
	ds_write2_b64 v202, v[108:109], v[112:113] offset0:104 offset1:130
	;; [unrolled: 1-line block ×4, first 2 shown]
	v_fmamk_f32 v126, v75, 0xbf3f9e67, v125
	v_add_f32_e32 v94, v94, v127
	v_fma_f32 v125, 0xbf3f9e67, v75, -v125
	v_mul_f32_e32 v127, 0x3eedf032, v89
	v_add_f32_e32 v95, v95, v128
	v_add_f32_e32 v126, v126, v131
	v_add_nc_u32_e32 v76, 0x800, v202
	v_add_f32_e32 v125, v125, v129
	v_fma_f32 v128, 0x3f62ad3f, v74, -v127
	v_mul_f32_e32 v129, 0x3eedf032, v88
	v_fmac_f32_e32 v127, 0x3f62ad3f, v74
	ds_write2_b64 v76, v[100:101], v[98:99] offset0:4 offset1:30
	ds_write_b64 v202, v[96:97] offset:2496
	v_mov_b32_e32 v76, 0x152
	v_add_f32_e32 v128, v128, v132
	v_fmamk_f32 v131, v75, 0x3f62ad3f, v129
	v_add_f32_e32 v127, v127, v130
	v_fma_f32 v129, 0x3f62ad3f, v75, -v129
	v_mul_f32_e32 v130, 0xbf7e222b, v89
	v_mul_u32_u24_sdwa v76, v123, v76 dst_sel:DWORD dst_unused:UNUSED_PAD src0_sel:WORD_0 src1_sel:DWORD
	v_add_f32_e32 v131, v131, v135
	v_add_f32_e32 v129, v129, v133
	v_fma_f32 v132, 0x3df6dbef, v74, -v130
	v_mul_f32_e32 v133, 0xbf7e222b, v88
	v_fmac_f32_e32 v130, 0x3df6dbef, v74
	v_add_lshl_u32 v205, v76, v122, 3
	v_add_f32_e32 v132, v132, v185
	v_fmamk_f32 v135, v75, 0x3df6dbef, v133
	v_add_f32_e32 v130, v130, v134
	v_fma_f32 v133, 0x3df6dbef, v75, -v133
	v_mul_f32_e32 v134, 0x3e750f2a, v89
	v_mul_f32_e32 v89, 0x3f52af12, v89
	v_add_f32_e32 v135, v135, v187
	v_add_f32_e32 v133, v133, v186
	v_fma_f32 v185, 0xbf788fa5, v74, -v134
	v_mul_f32_e32 v186, 0x3e750f2a, v88
	v_fmac_f32_e32 v134, 0xbf788fa5, v74
	v_mul_f32_e32 v88, 0x3f52af12, v88
	v_add_f32_e32 v185, v185, v189
	v_fmamk_f32 v187, v75, 0xbf788fa5, v186
	v_add_f32_e32 v134, v134, v188
	v_fma_f32 v188, 0x3f116cb1, v74, -v89
	v_fmac_f32_e32 v89, 0x3f116cb1, v74
	v_fma_f32 v74, 0x3f116cb1, v75, -v88
	v_fma_f32 v186, 0xbf788fa5, v75, -v186
	v_fmamk_f32 v189, v75, 0x3f116cb1, v88
	v_add_f32_e32 v75, v85, v87
	v_sub_f32_e32 v85, v85, v87
	v_add_f32_e32 v73, v74, v73
	v_add_f32_e32 v74, v84, v86
	v_sub_f32_e32 v84, v84, v86
	v_add_f32_e32 v72, v89, v72
	v_mul_f32_e32 v86, 0xbf29c268, v85
	v_add_f32_e32 v186, v186, v190
	v_add_f32_e32 v187, v187, v191
	v_mul_f32_e32 v88, 0xbf29c268, v84
	v_add_f32_e32 v188, v188, v192
	v_fma_f32 v87, 0xbf3f9e67, v74, -v86
	v_fmac_f32_e32 v86, 0xbf3f9e67, v74
	v_add_f32_e32 v189, v189, v194
	v_fmamk_f32 v89, v75, 0xbf3f9e67, v88
	v_fma_f32 v88, 0xbf3f9e67, v75, -v88
	v_add_f32_e32 v87, v87, v91
	v_add_f32_e32 v86, v86, v90
	v_mul_f32_e32 v90, 0x3f7e222b, v85
	v_add_f32_e32 v89, v89, v93
	v_add_f32_e32 v88, v88, v92
	v_mul_f32_e32 v92, 0x3f7e222b, v84
	v_fma_f32 v91, 0x3df6dbef, v74, -v90
	v_fmac_f32_e32 v90, 0x3df6dbef, v74
	v_fmamk_f32 v93, v75, 0x3df6dbef, v92
	v_add_f32_e32 v91, v91, v95
	v_add_f32_e32 v93, v93, v126
	;; [unrolled: 1-line block ×3, first 2 shown]
	v_fma_f32 v90, 0x3df6dbef, v75, -v92
	v_add_f32_e32 v92, v90, v125
	v_mul_f32_e32 v90, 0xbf52af12, v85
	v_fma_f32 v94, 0x3f116cb1, v74, -v90
	v_fmac_f32_e32 v90, 0x3f116cb1, v74
	v_add_f32_e32 v125, v94, v128
	v_mul_f32_e32 v94, 0xbf52af12, v84
	v_add_f32_e32 v127, v90, v127
	v_fma_f32 v90, 0x3f116cb1, v75, -v94
	v_fmamk_f32 v95, v75, 0x3f116cb1, v94
	v_add_f32_e32 v129, v90, v129
	v_mul_f32_e32 v90, 0x3e750f2a, v85
	v_add_f32_e32 v128, v95, v131
	v_fma_f32 v94, 0xbf788fa5, v74, -v90
	v_fmac_f32_e32 v90, 0xbf788fa5, v74
	v_add_f32_e32 v131, v94, v132
	v_mul_f32_e32 v94, 0x3e750f2a, v84
	v_add_f32_e32 v130, v90, v130
	v_fma_f32 v90, 0xbf788fa5, v75, -v94
	v_fmamk_f32 v95, v75, 0xbf788fa5, v94
	v_add_f32_e32 v133, v90, v133
	v_mul_f32_e32 v90, 0x3eedf032, v85
	v_add_f32_e32 v132, v95, v135
	v_mul_f32_e32 v85, 0xbf6f5d39, v85
	v_fma_f32 v94, 0x3f62ad3f, v74, -v90
	v_fmac_f32_e32 v90, 0x3f62ad3f, v74
	v_add_f32_e32 v135, v94, v185
	v_mul_f32_e32 v94, 0x3eedf032, v84
	v_add_f32_e32 v134, v90, v134
	v_mul_f32_e32 v84, 0xbf6f5d39, v84
	v_fma_f32 v90, 0x3f62ad3f, v75, -v94
	v_fmamk_f32 v95, v75, 0x3f62ad3f, v94
	v_add_f32_e32 v191, v90, v186
	v_fma_f32 v90, 0xbeb58ec6, v74, -v85
	v_fmac_f32_e32 v85, 0xbeb58ec6, v74
	v_add_f32_e32 v190, v95, v187
	v_add_f32_e32 v192, v90, v188
	v_fmamk_f32 v90, v75, 0xbeb58ec6, v84
	v_add_f32_e32 v85, v85, v72
	v_fma_f32 v72, 0xbeb58ec6, v75, -v84
	v_add_f32_e32 v84, v78, v82
	v_sub_f32_e32 v82, v79, v83
	v_add_f32_e32 v189, v90, v189
	v_add_f32_e32 v194, v72, v73
	v_mul_f32_e32 v72, 0xbe750f2a, v82
	v_fma_f32 v73, 0xbf788fa5, v84, -v72
	v_fmac_f32_e32 v72, 0xbf788fa5, v84
	v_add_f32_e32 v94, v73, v87
	v_mul_f32_e32 v73, 0xbe750f2a, v198
	v_add_f32_e32 v187, v72, v86
	v_fma_f32 v72, 0xbf788fa5, v195, -v73
	v_fmamk_f32 v74, v195, 0xbf788fa5, v73
	v_add_f32_e32 v188, v72, v88
	v_mul_f32_e32 v72, 0x3eedf032, v82
	v_add_f32_e32 v95, v74, v89
	v_fma_f32 v73, 0x3f62ad3f, v84, -v72
	v_fmac_f32_e32 v72, 0x3f62ad3f, v84
	v_add_f32_e32 v90, v73, v91
	v_mul_f32_e32 v73, 0x3eedf032, v198
	v_add_f32_e32 v185, v72, v126
	v_mul_f32_e32 v126, 0x3f7e222b, v198
	v_fma_f32 v72, 0x3f62ad3f, v195, -v73
	v_fmamk_f32 v74, v195, 0x3f62ad3f, v73
	v_add_f32_e32 v186, v72, v92
	v_mul_f32_e32 v72, 0xbf29c268, v82
	v_add_f32_e32 v91, v74, v93
	v_fma_f32 v73, 0xbf3f9e67, v84, -v72
	v_fmac_f32_e32 v72, 0xbf3f9e67, v84
	v_add_f32_e32 v92, v73, v125
	v_mul_f32_e32 v73, 0xbf29c268, v198
	v_mul_f32_e32 v125, 0x3f7e222b, v82
	v_add_f32_e32 v72, v72, v127
	v_fmamk_f32 v74, v195, 0xbf3f9e67, v73
	v_fma_f32 v73, 0xbf3f9e67, v195, -v73
	v_add_f32_e32 v93, v74, v128
	v_mul_f32_e32 v74, 0x3f52af12, v82
	v_add_f32_e32 v73, v73, v129
	v_fma_f32 v75, 0x3f116cb1, v84, -v74
	v_fmac_f32_e32 v74, 0x3f116cb1, v84
	v_add_f32_e32 v86, v75, v131
	v_mul_f32_e32 v75, 0x3f52af12, v198
	v_add_f32_e32 v74, v74, v130
	v_fmamk_f32 v78, v195, 0x3f116cb1, v75
	v_fma_f32 v75, 0x3f116cb1, v195, -v75
	v_add_f32_e32 v87, v78, v132
	v_mul_f32_e32 v78, 0xbf6f5d39, v82
	v_fma_f32 v82, 0x3df6dbef, v84, -v125
	v_fmac_f32_e32 v125, 0x3df6dbef, v84
	v_add_f32_e32 v75, v75, v133
	v_fma_f32 v79, 0xbeb58ec6, v84, -v78
	v_fmac_f32_e32 v78, 0xbeb58ec6, v84
	v_add_f32_e32 v84, v125, v85
	v_fma_f32 v85, 0x3df6dbef, v195, -v126
	v_add_f32_e32 v82, v82, v192
	v_add_f32_e32 v88, v79, v135
	v_mul_f32_e32 v79, 0xbf6f5d39, v198
	v_add_f32_e32 v78, v78, v134
	v_add_f32_e32 v85, v85, v194
	v_fmamk_f32 v83, v195, 0xbeb58ec6, v79
	v_fma_f32 v79, 0xbeb58ec6, v195, -v79
	v_add_f32_e32 v89, v83, v190
	v_fmamk_f32 v83, v195, 0x3df6dbef, v126
	v_add_f32_e32 v79, v79, v191
	v_add_f32_e32 v83, v83, v189
	ds_write2_b64 v205, v[80:81], v[94:95] offset1:26
	ds_write2_b64 v205, v[90:91], v[92:93] offset0:52 offset1:78
	ds_write2_b64 v205, v[86:87], v[88:89] offset0:104 offset1:130
	;; [unrolled: 1-line block ×4, first 2 shown]
	v_add_nc_u32_e32 v74, 0x800, v205
	ds_write2_b64 v74, v[72:73], v[185:186] offset0:4 offset1:30
	ds_write_b64 v205, v[187:188] offset:2496
	v_add_nc_u32_e32 v72, 0x1c00, v199
	s_waitcnt lgkmcnt(0)
	s_barrier
	buffer_gl0_inv
	ds_read2_b64 v[104:107], v199 offset1:52
	ds_read2_b64 v[124:127], v120 offset0:82 offset1:134
	ds_read2_b64 v[84:87], v184 offset0:164 offset1:216
	;; [unrolled: 1-line block ×11, first 2 shown]
	s_and_saveexec_b32 s1, s0
	s_xor_b32 s0, exec_lo, s1
	s_or_saveexec_b32 s0, s0
	v_add_nc_u32_e32 v198, 0x138, v136
                                        ; implicit-def: $vgpr189
                                        ; implicit-def: $vgpr191
	s_xor_b32 exec_lo, exec_lo, s0
	s_cbranch_execz .LBB0_3
; %bb.2:
	ds_read_b64 v[185:186], v199 offset:2496
	ds_read_b64 v[187:188], v199 offset:5200
	;; [unrolled: 1-line block ×4, first 2 shown]
	v_mov_b32_e32 v197, v198
.LBB0_3:
	s_or_b32 exec_lo, exec_lo, s0
	v_mad_u64_u32 v[128:129], null, v136, 24, s[10:11]
	v_add_co_u32 v72, s0, 0xa80, v128
	v_add_co_ci_u32_e64 v73, s0, 0, v129, s0
	v_add_co_u32 v74, s0, 0xf60, v128
	v_add_co_ci_u32_e64 v75, s0, 0, v129, s0
	;; [unrolled: 2-line block ×3, first 2 shown]
	s_clause 0x2
	global_load_dwordx2 v[183:184], v[72:73], off offset:16
	global_load_dwordx2 v[181:182], v[74:75], off offset:16
	global_load_dwordx4 v[76:79], v[130:131], off offset:640
	s_waitcnt vmcnt(2) lgkmcnt(8)
	v_mul_f32_e32 v213, v80, v184
	s_waitcnt vmcnt(1)
	v_mul_f32_e32 v215, v82, v182
	s_waitcnt vmcnt(0)
	v_mul_f32_e32 v72, v125, v77
	v_mul_f32_e32 v133, v124, v77
	;; [unrolled: 1-line block ×3, first 2 shown]
	v_fmac_f32_e32 v213, v81, v183
	v_fmac_f32_e32 v215, v83, v181
	v_fma_f32 v132, v124, v76, -v72
	global_load_dwordx4 v[72:75], v[130:131], off offset:1888
	v_fmac_f32_e32 v195, v85, v78
	v_fmac_f32_e32 v133, v125, v76
	v_sub_f32_e32 v213, v133, v213
	s_waitcnt vmcnt(0)
	v_mul_f32_e32 v124, v127, v73
	v_mul_f32_e32 v135, v126, v73
	;; [unrolled: 1-line block ×3, first 2 shown]
	v_fma_f32 v134, v126, v72, -v124
	v_mul_f32_e32 v124, v85, v79
	v_fmac_f32_e32 v135, v127, v72
	v_fmac_f32_e32 v207, v87, v74
	v_fma_f32 v194, v84, v78, -v124
	v_mul_f32_e32 v84, v87, v75
	v_fma_f32 v206, v86, v74, -v84
	v_mul_f32_e32 v84, v81, v184
	;; [unrolled: 2-line block ×3, first 2 shown]
	v_sub_f32_e32 v212, v132, v212
	v_fma_f32 v214, v82, v181, -v80
	v_add_co_u32 v80, s0, 0x1000, v128
	v_add_co_ci_u32_e64 v81, s0, 0, v129, s0
	v_add_co_u32 v82, s0, 0x1440, v128
	v_add_co_ci_u32_e64 v83, s0, 0, v129, s0
	;; [unrolled: 2-line block ×3, first 2 shown]
	s_clause 0x2
	global_load_dwordx2 v[126:127], v[82:83], off offset:16
	global_load_dwordx2 v[124:125], v[84:85], off offset:16
	global_load_dwordx4 v[84:87], v[80:81], off offset:1088
	v_add_co_u32 v130, s0, 0x1800, v128
	v_add_co_ci_u32_e64 v131, s0, 0, v129, s0
	s_waitcnt vmcnt(2) lgkmcnt(4)
	v_mul_f32_e32 v221, v88, v127
	s_waitcnt vmcnt(1)
	v_mul_f32_e32 v223, v90, v125
	s_waitcnt vmcnt(0)
	v_mul_f32_e32 v80, v121, v85
	v_mul_f32_e32 v211, v120, v85
	;; [unrolled: 1-line block ×3, first 2 shown]
	v_fmac_f32_e32 v221, v89, v126
	v_fmac_f32_e32 v223, v91, v124
	v_fma_f32 v210, v120, v84, -v80
	global_load_dwordx4 v[80:83], v[130:131], off offset:288
	v_fmac_f32_e32 v211, v121, v84
	v_fmac_f32_e32 v217, v93, v86
	s_waitcnt vmcnt(0)
	v_mul_f32_e32 v120, v123, v81
	v_mul_f32_e32 v209, v122, v81
	;; [unrolled: 1-line block ×3, first 2 shown]
	v_fma_f32 v208, v122, v80, -v120
	v_mul_f32_e32 v120, v93, v87
	v_fmac_f32_e32 v209, v123, v80
	v_fmac_f32_e32 v219, v95, v82
	v_fma_f32 v216, v92, v86, -v120
	v_mul_f32_e32 v92, v95, v83
	v_fma_f32 v218, v94, v82, -v92
	v_mul_f32_e32 v92, v89, v127
	;; [unrolled: 2-line block ×3, first 2 shown]
	v_fma_f32 v222, v90, v124, -v88
	v_add_co_u32 v88, s0, 0x1e00, v128
	v_add_co_ci_u32_e64 v89, s0, 0, v129, s0
	v_add_co_u32 v90, s0, 0x22e0, v128
	v_add_co_ci_u32_e64 v91, s0, 0, v129, s0
	global_load_dwordx2 v[122:123], v[88:89], off offset:16
	global_load_dwordx2 v[120:121], v[90:91], off offset:16
	global_load_dwordx4 v[92:95], v[130:131], off offset:1536
	v_add_co_u32 v128, s0, 0x2000, v128
	v_add_co_ci_u32_e64 v129, s0, 0, v129, s0
	s_waitcnt vmcnt(1) lgkmcnt(0)
	v_mul_f32_e32 v131, v110, v121
	s_waitcnt vmcnt(0)
	v_mul_f32_e32 v88, v117, v93
	v_fmac_f32_e32 v131, v111, v120
	v_fma_f32 v130, v116, v92, -v88
	global_load_dwordx4 v[88:91], v[128:129], off offset:736
	v_mul_f32_e32 v116, v116, v93
	v_mul_f32_e32 v128, v108, v123
	v_fmac_f32_e32 v116, v117, v92
	v_fmac_f32_e32 v128, v109, v122
	s_waitcnt vmcnt(0)
	v_mul_f32_e32 v117, v119, v89
	v_fma_f32 v117, v118, v88, -v117
	v_mul_f32_e32 v118, v118, v89
	v_fmac_f32_e32 v118, v119, v88
	v_mul_f32_e32 v119, v113, v95
	v_fma_f32 v119, v112, v94, -v119
	v_mul_f32_e32 v112, v112, v95
	v_fmac_f32_e32 v112, v113, v94
	;; [unrolled: 4-line block ×3, first 2 shown]
	v_mul_f32_e32 v115, v109, v123
	v_sub_f32_e32 v109, v105, v195
	v_fma_f32 v115, v108, v122, -v115
	v_mul_f32_e32 v108, v111, v121
	v_sub_f32_e32 v111, v107, v207
	v_fma_f32 v195, v105, 2.0, -v109
	v_add_f32_e32 v105, v109, v212
	v_fma_f32 v129, v110, v120, -v108
	v_sub_f32_e32 v108, v104, v194
	v_sub_f32_e32 v110, v106, v206
	v_fma_f32 v207, v107, 2.0, -v111
	v_fma_f32 v107, v109, 2.0, -v105
	;; [unrolled: 1-line block ×3, first 2 shown]
	v_sub_f32_e32 v104, v108, v213
	v_fma_f32 v206, v106, 2.0, -v110
	v_fma_f32 v106, v108, 2.0, -v104
	ds_write_b64 v199, v[104:105] offset:8112
	ds_write_b64 v199, v[106:107] offset:2704
	v_fma_f32 v104, v132, 2.0, -v212
	v_fma_f32 v105, v133, 2.0, -v213
	v_sub_f32_e32 v132, v134, v214
	v_sub_f32_e32 v133, v135, v215
	v_add_nc_u32_e32 v213, 0xc00, v199
	v_sub_f32_e32 v104, v194, v104
	v_sub_f32_e32 v105, v195, v105
	v_fma_f32 v106, v194, 2.0, -v104
	v_fma_f32 v107, v195, 2.0, -v105
	ds_write_b64 v199, v[104:105] offset:5408
	v_fma_f32 v104, v134, 2.0, -v132
	v_fma_f32 v105, v135, 2.0, -v133
	v_sub_f32_e32 v134, v211, v221
	v_sub_f32_e32 v135, v210, v220
	;; [unrolled: 1-line block ×4, first 2 shown]
	v_fma_f32 v108, v206, 2.0, -v104
	v_fma_f32 v109, v207, 2.0, -v105
	ds_write2_b64 v199, v[106:107], v[108:109] offset1:52
	ds_write_b64 v199, v[104:105] offset:5824
	v_sub_f32_e32 v104, v110, v133
	v_add_f32_e32 v105, v111, v132
	v_sub_f32_e32 v132, v100, v216
	v_sub_f32_e32 v133, v101, v217
	v_add_nc_u32_e32 v207, 0x800, v199
	v_fma_f32 v106, v110, 2.0, -v104
	v_fma_f32 v107, v111, 2.0, -v105
	v_sub_f32_e32 v108, v132, v134
	v_add_f32_e32 v109, v133, v135
	v_add_nc_u32_e32 v206, 0x2000, v199
	v_fma_f32 v110, v132, 2.0, -v108
	v_fma_f32 v111, v133, 2.0, -v109
	ds_write2_b64 v206, v[104:105], v[108:109] offset0:42 offset1:94
	v_sub_f32_e32 v108, v102, v218
	v_sub_f32_e32 v109, v103, v219
	v_fma_f32 v104, v100, 2.0, -v132
	ds_write2_b64 v207, v[106:107], v[110:111] offset0:134 offset1:186
	v_sub_f32_e32 v110, v208, v222
	v_sub_f32_e32 v111, v209, v223
	v_fma_f32 v105, v101, 2.0, -v133
	v_fma_f32 v106, v102, 2.0, -v108
	;; [unrolled: 1-line block ×7, first 2 shown]
	v_add_nc_u32_e32 v208, 0x1800, v199
	v_sub_f32_e32 v100, v104, v100
	v_sub_f32_e32 v101, v105, v101
	;; [unrolled: 1-line block ×4, first 2 shown]
	v_add_nc_u32_e32 v211, 0x400, v199
	v_fma_f32 v104, v104, 2.0, -v100
	v_fma_f32 v105, v105, 2.0, -v101
	v_fma_f32 v106, v106, 2.0, -v102
	v_fma_f32 v107, v107, 2.0, -v103
	ds_write2_b64 v208, v[100:101], v[102:103] offset0:12 offset1:64
	v_sub_f32_e32 v100, v108, v111
	v_add_f32_e32 v101, v109, v110
	v_sub_f32_e32 v110, v98, v113
	ds_write2_b64 v199, v[104:105], v[106:107] offset0:104 offset1:156
	v_sub_f32_e32 v106, v96, v119
	v_fma_f32 v102, v108, 2.0, -v100
	v_fma_f32 v103, v109, 2.0, -v101
	v_sub_f32_e32 v107, v97, v112
	v_sub_f32_e32 v108, v116, v128
	v_sub_f32_e32 v109, v130, v115
	ds_write_b64 v199, v[100:101] offset:9360
	v_sub_f32_e32 v111, v99, v114
	v_add_nc_u32_e32 v119, 0x1040, v196
	v_sub_f32_e32 v100, v106, v108
	v_add_f32_e32 v101, v107, v109
	v_add_nc_u32_e32 v115, 0x1d40, v196
	v_add_nc_u32_e32 v114, 0x2080, v196
	;; [unrolled: 1-line block ×3, first 2 shown]
	v_fma_f32 v104, v106, 2.0, -v100
	v_fma_f32 v105, v107, 2.0, -v101
	v_add_nc_u32_e32 v112, 0x2700, v196
	ds_write2_b64 v213, v[102:103], v[104:105] offset0:110 offset1:162
	v_fma_f32 v102, v96, 2.0, -v106
	v_fma_f32 v103, v97, 2.0, -v107
	v_sub_f32_e32 v106, v117, v129
	v_sub_f32_e32 v107, v118, v131
	v_fma_f32 v104, v98, 2.0, -v110
	v_fma_f32 v105, v99, 2.0, -v111
	;; [unrolled: 1-line block ×6, first 2 shown]
	v_lshlrev_b32_e32 v118, 4, v198
	v_sub_f32_e32 v96, v102, v96
	v_sub_f32_e32 v97, v103, v97
	;; [unrolled: 1-line block ×4, first 2 shown]
	v_add_nc_u32_e32 v117, 0x16c0, v196
	v_fma_f32 v102, v102, 2.0, -v96
	v_fma_f32 v103, v103, 2.0, -v97
	;; [unrolled: 1-line block ×4, first 2 shown]
	ds_write2_b64 v211, v[102:103], v[104:105] offset0:80 offset1:132
	ds_write2_b64 v208, v[96:97], v[98:99] offset0:116 offset1:168
	v_mul_i32_i24_e32 v98, 24, v197
	v_mul_hi_i32_i24_e32 v99, 24, v197
	v_sub_f32_e32 v96, v110, v107
	v_add_f32_e32 v97, v111, v106
	v_add_nc_u32_e32 v116, 0x1a00, v196
	v_add_co_u32 v98, s0, s10, v98
	v_add_co_ci_u32_e64 v99, s0, s11, v99, s0
	ds_write2_b64 v206, v[100:101], v[96:97] offset0:198 offset1:250
	v_fma_f32 v100, v110, 2.0, -v96
	v_add_co_u32 v96, s0, 0xa80, v98
	v_fma_f32 v101, v111, 2.0, -v97
	v_add_co_ci_u32_e64 v97, s0, 0, v99, s0
	v_add_co_u32 v98, s0, 0x800, v98
	v_add_co_ci_u32_e64 v99, s0, 0, v99, s0
	s_clause 0x1
	global_load_dwordx2 v[104:105], v[96:97], off offset:16
	global_load_dwordx4 v[96:99], v[98:99], off offset:640
	ds_write_b64 v199, v[100:101] offset:4784
	s_waitcnt vmcnt(1)
	v_mul_f32_e32 v108, v190, v105
	s_waitcnt vmcnt(0)
	v_mul_f32_e32 v102, v188, v97
	v_mul_f32_e32 v107, v187, v97
	;; [unrolled: 1-line block ×4, first 2 shown]
	v_fma_f32 v108, v189, v104, -v108
	v_fma_f32 v106, v187, v96, -v102
	v_mul_f32_e32 v102, v192, v99
	v_fmac_f32_e32 v107, v188, v96
	v_fmac_f32_e32 v103, v192, v98
	;; [unrolled: 1-line block ×3, first 2 shown]
	v_sub_f32_e32 v108, v106, v108
	v_fma_f32 v102, v191, v98, -v102
	v_add_nc_u32_e32 v187, 0x680, v196
	v_sub_f32_e32 v101, v186, v103
	v_sub_f32_e32 v109, v107, v109
	v_fma_f32 v110, v106, 2.0, -v108
	v_sub_f32_e32 v100, v185, v102
	v_fma_f32 v103, v186, 2.0, -v101
	v_fma_f32 v111, v107, 2.0, -v109
	v_add_f32_e32 v107, v101, v108
	v_fma_f32 v102, v185, 2.0, -v100
	v_sub_f32_e32 v106, v100, v109
	v_add_nc_u32_e32 v186, 0x9c0, v196
	v_sub_f32_e32 v109, v103, v111
	v_add_nc_u32_e32 v185, 0xd00, v196
	v_sub_f32_e32 v108, v102, v110
	s_and_saveexec_b32 s0, vcc_lo
	s_cbranch_execz .LBB0_5
; %bb.4:
	v_fma_f32 v103, v103, 2.0, -v109
	v_fma_f32 v102, v102, 2.0, -v108
	;; [unrolled: 1-line block ×4, first 2 shown]
	ds_write_b64 v199, v[102:103] offset:2496
	ds_write_b64 v199, v[100:101] offset:5200
	;; [unrolled: 1-line block ×4, first 2 shown]
.LBB0_5:
	s_or_b32 exec_lo, exec_lo, s0
	v_lshlrev_b32_e32 v194, 3, v136
	s_add_u32 s2, s8, 0x2a40
	s_addc_u32 s3, s9, 0
	s_waitcnt lgkmcnt(0)
	s_barrier
	buffer_gl0_inv
	global_load_dwordx2 v[100:101], v194, s[2:3]
	v_add_co_u32 v188, s0, s2, v194
	v_add_co_ci_u32_e64 v189, null, s3, 0, s0
	ds_read2_b64 v[214:217], v199 offset1:52
	v_add_co_u32 v110, s0, 0x1000, v188
	v_add_co_ci_u32_e64 v111, s0, 0, v189, s0
	v_add_nc_u32_e32 v210, 0x1000, v199
	v_add_nc_u32_e32 v212, 0x1400, v199
	buffer_store_dword v136, off, s[16:19], 0 offset:8 ; 4-byte Folded Spill
	global_load_dwordx2 v[128:129], v[110:111], off offset:1312
	s_waitcnt vmcnt(1) lgkmcnt(0)
	v_mul_f32_e32 v102, v215, v101
	v_mul_f32_e32 v103, v214, v101
	v_fma_f32 v102, v214, v100, -v102
	v_fmac_f32_e32 v103, v215, v100
	ds_write_b64 v199, v[102:103]
	ds_read2_b64 v[100:103], v210 offset0:112 offset1:164
	ds_read2_b64 v[218:221], v199 offset0:104 offset1:156
	s_waitcnt vmcnt(0) lgkmcnt(1)
	v_mul_f32_e32 v130, v103, v129
	v_mul_f32_e32 v131, v102, v129
	v_fma_f32 v130, v102, v128, -v130
	v_fmac_f32_e32 v131, v103, v128
	global_load_dwordx2 v[102:103], v194, s[2:3] offset:416
	s_waitcnt vmcnt(0)
	v_mul_f32_e32 v128, v217, v103
	v_mul_f32_e32 v129, v216, v103
	v_fma_f32 v128, v216, v102, -v128
	v_fmac_f32_e32 v129, v217, v102
	global_load_dwordx2 v[102:103], v[110:111], off offset:1728
	ds_read2_b64 v[214:217], v212 offset0:88 offset1:140
	s_waitcnt vmcnt(0) lgkmcnt(0)
	v_mul_f32_e32 v132, v215, v103
	v_mul_f32_e32 v133, v214, v103
	v_fma_f32 v132, v214, v102, -v132
	v_fmac_f32_e32 v133, v215, v102
	global_load_dwordx2 v[102:103], v194, s[2:3] offset:832
	ds_write2_b64 v210, v[130:131], v[132:133] offset0:164 offset1:216
	s_waitcnt vmcnt(0)
	v_mul_f32_e32 v130, v219, v103
	v_mul_f32_e32 v131, v218, v103
	v_fma_f32 v130, v218, v102, -v130
	v_fmac_f32_e32 v131, v219, v102
	v_add_co_u32 v102, s0, 0x1800, v188
	v_add_co_ci_u32_e64 v103, s0, 0, v189, s0
	ds_write2_b64 v199, v[128:129], v[130:131] offset0:52 offset1:104
	global_load_dwordx2 v[128:129], v[102:103], off offset:96
	s_waitcnt vmcnt(0)
	v_mul_f32_e32 v130, v217, v129
	v_mul_f32_e32 v131, v216, v129
	v_fma_f32 v130, v216, v128, -v130
	v_fmac_f32_e32 v131, v217, v128
	global_load_dwordx2 v[128:129], v194, s[2:3] offset:1248
	ds_read2_b64 v[214:217], v208 offset0:64 offset1:116
	s_waitcnt vmcnt(0)
	v_mul_f32_e32 v132, v221, v129
	v_mul_f32_e32 v133, v220, v129
	v_fma_f32 v132, v220, v128, -v132
	v_fmac_f32_e32 v133, v221, v128
	global_load_dwordx2 v[128:129], v193, s[2:3]
	ds_read2_b64 v[190:193], v211 offset0:80 offset1:132
	s_waitcnt vmcnt(0) lgkmcnt(1)
	v_mul_f32_e32 v134, v215, v129
	v_mul_f32_e32 v135, v214, v129
	v_fma_f32 v134, v214, v128, -v134
	v_fmac_f32_e32 v135, v215, v128
	global_load_dwordx2 v[128:129], v194, s[2:3] offset:1664
	ds_write2_b64 v208, v[130:131], v[134:135] offset0:12 offset1:64
	s_waitcnt vmcnt(0) lgkmcnt(1)
	v_mul_f32_e32 v130, v191, v129
	v_mul_f32_e32 v131, v190, v129
	v_fma_f32 v130, v190, v128, -v130
	v_fmac_f32_e32 v131, v191, v128
	global_load_dwordx2 v[128:129], v[102:103], off offset:928
	ds_write2_b64 v199, v[132:133], v[130:131] offset0:156 offset1:208
	s_waitcnt vmcnt(0)
	v_mul_f32_e32 v130, v217, v129
	v_mul_f32_e32 v131, v216, v129
	v_fma_f32 v130, v216, v128, -v130
	v_fmac_f32_e32 v131, v217, v128
	v_add_co_u32 v128, s0, 0x800, v188
	v_add_co_ci_u32_e64 v129, s0, 0, v189, s0
	ds_read2_b64 v[214:217], v207 offset0:56 offset1:108
	global_load_dwordx2 v[132:133], v[128:129], off offset:32
	s_waitcnt vmcnt(0)
	v_mul_f32_e32 v134, v193, v133
	v_mul_f32_e32 v135, v192, v133
	v_fma_f32 v134, v192, v132, -v134
	v_fmac_f32_e32 v135, v193, v132
	global_load_dwordx2 v[132:133], v[102:103], off offset:1344
	ds_read2_b64 v[190:193], v208 offset0:168 offset1:220
	global_load_dwordx2 v[102:103], v[102:103], off offset:1760
	s_waitcnt vmcnt(1) lgkmcnt(0)
	v_mul_f32_e32 v194, v191, v133
	v_mul_f32_e32 v195, v190, v133
	v_fma_f32 v194, v190, v132, -v194
	v_fmac_f32_e32 v195, v191, v132
	ds_write2_b64 v208, v[130:131], v[194:195] offset0:116 offset1:168
	global_load_dwordx2 v[130:131], v[128:129], off offset:448
	s_waitcnt vmcnt(0)
	v_mul_f32_e32 v132, v215, v131
	v_mul_f32_e32 v133, v214, v131
	;; [unrolled: 1-line block ×3, first 2 shown]
	v_fma_f32 v132, v214, v130, -v132
	v_fmac_f32_e32 v133, v215, v130
	v_mul_f32_e32 v130, v193, v103
	v_fmac_f32_e32 v131, v193, v102
	ds_write2_b64 v207, v[134:135], v[132:133] offset0:4 offset1:56
	v_fma_f32 v130, v192, v102, -v130
	global_load_dwordx2 v[102:103], v[128:129], off offset:864
	ds_read2_b64 v[190:193], v206 offset0:16 offset1:68
	s_waitcnt vmcnt(0)
	v_mul_f32_e32 v132, v217, v103
	v_mul_f32_e32 v133, v216, v103
	v_fma_f32 v132, v216, v102, -v132
	v_fmac_f32_e32 v133, v217, v102
	v_add_co_u32 v102, s0, 0x2000, v188
	v_add_co_ci_u32_e64 v103, s0, 0, v189, s0
	ds_read2_b64 v[214:217], v207 offset0:160 offset1:212
	global_load_dwordx2 v[134:135], v[102:103], off offset:128
	s_waitcnt vmcnt(0) lgkmcnt(1)
	v_mul_f32_e32 v194, v191, v135
	v_mul_f32_e32 v195, v190, v135
	v_fma_f32 v194, v190, v134, -v194
	v_fmac_f32_e32 v195, v191, v134
	v_add_nc_u32_e32 v134, 0x1c00, v199
	ds_write2_b64 v134, v[130:131], v[194:195] offset0:92 offset1:144
	s_clause 0x1
	global_load_dwordx2 v[130:131], v[128:129], off offset:1280
	global_load_dwordx2 v[128:129], v[128:129], off offset:1696
	s_waitcnt vmcnt(1) lgkmcnt(1)
	v_mul_f32_e32 v134, v215, v131
	v_mul_f32_e32 v135, v214, v131
	v_fma_f32 v134, v214, v130, -v134
	v_fmac_f32_e32 v135, v215, v130
	global_load_dwordx2 v[130:131], v[102:103], off offset:544
	ds_write2_b64 v207, v[132:133], v[134:135] offset0:108 offset1:160
	s_waitcnt vmcnt(0)
	v_mul_f32_e32 v132, v193, v131
	v_mul_f32_e32 v133, v192, v131
	;; [unrolled: 1-line block ×3, first 2 shown]
	v_fma_f32 v132, v192, v130, -v132
	v_fmac_f32_e32 v133, v193, v130
	v_mul_f32_e32 v130, v217, v129
	v_fmac_f32_e32 v131, v217, v128
	ds_read2_b64 v[190:193], v206 offset0:120 offset1:172
	v_fma_f32 v130, v216, v128, -v130
	global_load_dwordx2 v[128:129], v[102:103], off offset:960
	ds_read2_b64 v[214:217], v210 offset0:8 offset1:60
	s_waitcnt vmcnt(0) lgkmcnt(1)
	v_mul_f32_e32 v134, v191, v129
	v_mul_f32_e32 v135, v190, v129
	v_fma_f32 v134, v190, v128, -v134
	v_fmac_f32_e32 v135, v191, v128
	global_load_dwordx2 v[128:129], v[110:111], off offset:64
	ds_write2_b64 v206, v[132:133], v[134:135] offset0:68 offset1:120
	s_waitcnt vmcnt(0) lgkmcnt(1)
	v_mul_f32_e32 v132, v215, v129
	v_mul_f32_e32 v133, v214, v129
	v_fma_f32 v132, v214, v128, -v132
	v_fmac_f32_e32 v133, v215, v128
	s_clause 0x1
	global_load_dwordx2 v[128:129], v[102:103], off offset:1376
	global_load_dwordx2 v[102:103], v[102:103], off offset:1792
	ds_write2_b64 v213, v[130:131], v[132:133] offset0:84 offset1:136
	v_add_nc_u32_e32 v213, 0x2400, v199
	s_waitcnt vmcnt(1)
	v_mul_f32_e32 v130, v193, v129
	v_mul_f32_e32 v131, v192, v129
	v_fma_f32 v130, v192, v128, -v130
	v_fmac_f32_e32 v131, v193, v128
	global_load_dwordx2 v[128:129], v[110:111], off offset:480
	ds_read2_b64 v[190:193], v213 offset0:96 offset1:148
	s_waitcnt vmcnt(0)
	v_mul_f32_e32 v132, v217, v129
	v_mul_f32_e32 v133, v216, v129
	s_waitcnt lgkmcnt(0)
	v_mul_f32_e32 v129, v190, v103
	v_fma_f32 v132, v216, v128, -v132
	v_fmac_f32_e32 v133, v217, v128
	v_mul_f32_e32 v128, v191, v103
	v_fmac_f32_e32 v129, v191, v102
	v_fma_f32 v128, v190, v102, -v128
	global_load_dwordx2 v[102:103], v[110:111], off offset:896
	ds_write2_b64 v206, v[130:131], v[128:129] offset0:172 offset1:224
	s_waitcnt vmcnt(0)
	v_mul_f32_e32 v110, v101, v103
	v_mul_f32_e32 v111, v100, v103
	v_fma_f32 v110, v100, v102, -v110
	v_add_co_u32 v100, s0, 0x2800, v188
	v_fmac_f32_e32 v111, v101, v102
	v_add_co_ci_u32_e64 v101, s0, 0, v189, s0
	ds_write2_b64 v210, v[132:133], v[110:111] offset0:60 offset1:112
	global_load_dwordx2 v[100:101], v[100:101], off offset:160
	s_waitcnt vmcnt(0)
	v_mul_f32_e32 v102, v193, v101
	v_mul_f32_e32 v103, v192, v101
	v_fma_f32 v102, v192, v100, -v102
	v_fmac_f32_e32 v103, v193, v100
	ds_write_b64 v199, v[102:103] offset:10400
	s_waitcnt lgkmcnt(0)
	s_waitcnt_vscnt null, 0x0
	s_barrier
	buffer_gl0_inv
	ds_read2_b64 v[100:103], v199 offset1:52
	ds_read2_b64 v[188:191], v210 offset0:112 offset1:164
	ds_read2_b64 v[214:217], v212 offset0:88 offset1:140
	;; [unrolled: 1-line block ×12, first 2 shown]
	s_waitcnt lgkmcnt(0)
	s_barrier
	buffer_gl0_inv
	v_sub_f32_e32 v130, v100, v190
	v_sub_f32_e32 v134, v102, v214
	v_sub_f32_e32 v135, v103, v215
	v_sub_f32_e32 v131, v101, v191
	v_fma_f32 v128, v100, 2.0, -v130
	v_fma_f32 v132, v102, 2.0, -v134
	;; [unrolled: 1-line block ×3, first 2 shown]
	v_sub_f32_e32 v102, v218, v216
	v_sub_f32_e32 v103, v219, v217
	v_sub_f32_e32 v216, v220, v222
	v_sub_f32_e32 v217, v221, v223
	v_sub_f32_e32 v192, v252, v192
	v_sub_f32_e32 v193, v253, v193
	v_sub_f32_e32 v196, v188, v194
	v_fma_f32 v214, v220, 2.0, -v216
	v_fma_f32 v215, v221, 2.0, -v217
	v_sub_f32_e32 v220, v226, v224
	v_sub_f32_e32 v221, v227, v225
	;; [unrolled: 1-line block ×4, first 2 shown]
	v_fma_f32 v129, v101, 2.0, -v131
	v_sub_f32_e32 v197, v189, v195
	v_fma_f32 v100, v218, 2.0, -v102
	v_fma_f32 v222, v228, 2.0, -v224
	v_fma_f32 v223, v229, 2.0, -v225
	v_sub_f32_e32 v228, v234, v232
	v_sub_f32_e32 v229, v235, v233
	;; [unrolled: 1-line block ×4, first 2 shown]
	v_fma_f32 v101, v219, 2.0, -v103
	v_fma_f32 v218, v226, 2.0, -v220
	;; [unrolled: 1-line block ×5, first 2 shown]
	v_sub_f32_e32 v236, v242, v240
	v_sub_f32_e32 v237, v243, v241
	;; [unrolled: 1-line block ×4, first 2 shown]
	v_fma_f32 v226, v234, 2.0, -v228
	v_fma_f32 v227, v235, 2.0, -v229
	;; [unrolled: 1-line block ×5, first 2 shown]
	v_sub_f32_e32 v244, v250, v248
	v_sub_f32_e32 v245, v251, v249
	v_fma_f32 v235, v243, 2.0, -v237
	v_fma_f32 v190, v252, 2.0, -v192
	;; [unrolled: 1-line block ×7, first 2 shown]
	ds_write_b128 v255, v[128:131]
	ds_write_b128 v254, v[132:135]
	;; [unrolled: 1-line block ×13, first 2 shown]
	s_waitcnt lgkmcnt(0)
	s_barrier
	buffer_gl0_inv
	ds_read2_b64 v[100:103], v199 offset1:52
	ds_read2_b64 v[110:113], v199 offset0:104 offset1:156
	ds_read2_b64 v[114:117], v211 offset0:80 offset1:132
	;; [unrolled: 1-line block ×12, first 2 shown]
	s_waitcnt lgkmcnt(0)
	s_barrier
	buffer_gl0_inv
	v_mul_f32_e32 v136, v21, v111
	v_mul_f32_e32 v229, v23, v115
	;; [unrolled: 1-line block ×5, first 2 shown]
	v_fmac_f32_e32 v136, v20, v110
	v_mul_f32_e32 v110, v21, v110
	v_fmac_f32_e32 v229, v22, v114
	v_mul_f32_e32 v214, v1, v233
	v_mul_f32_e32 v21, v21, v112
	v_fmac_f32_e32 v218, v20, v112
	v_fma_f32 v209, v20, v111, -v110
	v_mul_f32_e32 v110, v23, v114
	v_mul_f32_e32 v114, v1, v232
	;; [unrolled: 1-line block ×3, first 2 shown]
	v_fmac_f32_e32 v214, v0, v232
	v_fma_f32 v197, v20, v113, -v21
	v_fma_f32 v230, v22, v115, -v110
	;; [unrolled: 1-line block ×3, first 2 shown]
	v_mul_f32_e32 v114, v3, v236
	v_mul_f32_e32 v110, v13, v128
	;; [unrolled: 1-line block ×3, first 2 shown]
	v_fmac_f32_e32 v216, v8, v187
	v_fma_f32 v111, v10, v192, -v111
	v_fma_f32 v220, v2, v237, -v114
	v_mul_f32_e32 v114, v17, v240
	v_fma_f32 v226, v12, v129, -v110
	v_mul_f32_e32 v110, v15, v132
	v_mul_f32_e32 v112, v11, v194
	v_fmac_f32_e32 v225, v12, v128
	v_fma_f32 v224, v16, v241, -v114
	v_mul_f32_e32 v114, v19, v244
	v_fma_f32 v222, v14, v133, -v110
	v_mul_f32_e32 v110, v9, v187
	v_mul_f32_e32 v221, v15, v133
	v_mul_f32_e32 v219, v3, v237
	v_fma_f32 v228, v18, v245, -v114
	v_mul_f32_e32 v114, v5, v248
	v_fma_f32 v217, v8, v188, -v110
	v_mul_f32_e32 v110, v11, v192
	v_fma_f32 v192, v22, v117, -v20
	v_fmac_f32_e32 v221, v14, v132
	v_fma_f32 v233, v4, v249, -v114
	v_mul_f32_e32 v114, v7, v252
	v_fmac_f32_e32 v110, v10, v191
	v_mul_f32_e32 v191, v23, v117
	v_fmac_f32_e32 v219, v2, v236
	v_mul_f32_e32 v223, v17, v241
	v_fma_f32 v129, v6, v253, -v114
	v_mul_f32_e32 v114, v1, v235
	v_mul_f32_e32 v1, v1, v234
	v_fmac_f32_e32 v191, v22, v116
	v_mul_f32_e32 v116, v9, v190
	v_mul_f32_e32 v9, v9, v189
	v_fmac_f32_e32 v114, v0, v234
	v_fma_f32 v115, v0, v235, -v1
	v_mul_f32_e32 v0, v3, v238
	v_fmac_f32_e32 v116, v8, v189
	v_fma_f32 v117, v8, v190, -v9
	v_mul_f32_e32 v8, v11, v193
	v_add_f32_e32 v1, v101, v209
	v_fma_f32 v186, v2, v239, -v0
	v_mul_f32_e32 v0, v17, v242
	v_fmac_f32_e32 v223, v16, v240
	v_fma_f32 v113, v10, v194, -v8
	v_add_f32_e32 v1, v1, v230
	v_mul_f32_e32 v227, v19, v245
	v_fma_f32 v190, v16, v243, -v0
	v_mul_f32_e32 v0, v19, v246
	v_mul_f32_e32 v232, v5, v249
	v_add_f32_e32 v1, v1, v226
	v_fmac_f32_e32 v227, v18, v244
	v_mul_f32_e32 v128, v7, v253
	v_fma_f32 v194, v18, v247, -v0
	v_mul_f32_e32 v0, v5, v250
	v_add_f32_e32 v1, v1, v222
	v_fmac_f32_e32 v232, v4, v248
	v_mul_f32_e32 v187, v13, v131
	v_mul_f32_e32 v13, v13, v130
	v_fma_f32 v196, v4, v251, -v0
	v_mul_f32_e32 v0, v7, v254
	v_add_f32_e32 v1, v1, v217
	v_fmac_f32_e32 v128, v6, v252
	v_fmac_f32_e32 v187, v12, v130
	v_fma_f32 v188, v12, v131, -v13
	v_fma_f32 v198, v6, v255, -v0
	v_add_f32_e32 v0, v100, v136
	v_add_f32_e32 v1, v1, v111
	v_mul_f32_e32 v12, v15, v134
	v_mul_f32_e32 v185, v3, v239
	;; [unrolled: 1-line block ×3, first 2 shown]
	v_add_f32_e32 v0, v0, v229
	v_add_f32_e32 v1, v1, v215
	v_mul_f32_e32 v195, v5, v251
	v_fma_f32 v119, v14, v135, -v12
	v_fmac_f32_e32 v185, v2, v238
	v_add_f32_e32 v0, v0, v225
	v_add_f32_e32 v1, v1, v220
	v_fmac_f32_e32 v189, v16, v242
	v_fmac_f32_e32 v195, v4, v250
	v_sub_f32_e32 v4, v136, v128
	v_add_f32_e32 v0, v0, v221
	v_add_f32_e32 v1, v1, v224
	v_mul_f32_e32 v231, v7, v255
	v_sub_f32_e32 v5, v209, v129
	v_mul_f32_e32 v118, v15, v135
	v_add_f32_e32 v0, v0, v216
	v_add_f32_e32 v1, v1, v228
	v_fmac_f32_e32 v112, v10, v193
	v_mul_f32_e32 v193, v19, v247
	v_fmac_f32_e32 v231, v6, v254
	v_add_f32_e32 v0, v0, v110
	v_add_f32_e32 v1, v1, v233
	v_mul_f32_e32 v6, 0xbeedf032, v5
	v_fmac_f32_e32 v118, v14, v134
	v_fmac_f32_e32 v193, v18, v246
	v_add_f32_e32 v0, v0, v214
	v_add_f32_e32 v3, v1, v129
	v_add_f32_e32 v1, v209, v129
	v_mul_f32_e32 v10, 0xbf52af12, v5
	v_mul_f32_e32 v14, 0xbf7e222b, v5
	v_add_f32_e32 v0, v0, v219
	v_mul_f32_e32 v18, 0xbf6f5d39, v5
	v_mul_f32_e32 v8, 0x3f62ad3f, v1
	;; [unrolled: 1-line block ×4, first 2 shown]
	v_add_f32_e32 v0, v0, v223
	v_mul_f32_e32 v20, 0xbeb58ec6, v1
	v_fmamk_f32 v9, v4, 0x3eedf032, v8
	v_fmac_f32_e32 v8, 0xbeedf032, v4
	v_fmamk_f32 v13, v4, 0x3f52af12, v12
	v_add_f32_e32 v0, v0, v227
	v_fmac_f32_e32 v12, 0xbf52af12, v4
	v_fmamk_f32 v17, v4, 0x3f7e222b, v16
	v_fmac_f32_e32 v16, 0xbf7e222b, v4
	v_fmamk_f32 v21, v4, 0x3f6f5d39, v20
	v_add_f32_e32 v0, v0, v232
	v_fmac_f32_e32 v20, 0xbf6f5d39, v4
	v_add_f32_e32 v9, v101, v9
	v_add_f32_e32 v8, v101, v8
	;; [unrolled: 1-line block ×5, first 2 shown]
	v_mul_f32_e32 v128, 0xbf3f9e67, v1
	v_mul_f32_e32 v1, 0xbf788fa5, v1
	v_add_f32_e32 v12, v101, v12
	v_add_f32_e32 v17, v101, v17
	;; [unrolled: 1-line block ×3, first 2 shown]
	v_fmamk_f32 v129, v4, 0x3f29c268, v128
	v_fmac_f32_e32 v128, 0xbf29c268, v4
	v_fmamk_f32 v131, v4, 0x3e750f2a, v1
	v_fmac_f32_e32 v1, 0xbe750f2a, v4
	v_add_f32_e32 v21, v101, v21
	v_add_f32_e32 v20, v101, v20
	;; [unrolled: 1-line block ×6, first 2 shown]
	v_sub_f32_e32 v101, v230, v233
	v_fmamk_f32 v7, v0, 0x3f62ad3f, v6
	v_mul_f32_e32 v22, 0xbf29c268, v5
	v_mul_f32_e32 v5, 0xbe750f2a, v5
	v_add_f32_e32 v4, v229, v232
	v_mul_f32_e32 v132, 0xbf52af12, v101
	v_add_f32_e32 v7, v100, v7
	v_fma_f32 v6, 0x3f62ad3f, v0, -v6
	v_fmamk_f32 v11, v0, 0x3f116cb1, v10
	v_fma_f32 v10, 0x3f116cb1, v0, -v10
	v_fmamk_f32 v15, v0, 0x3df6dbef, v14
	;; [unrolled: 2-line block ×5, first 2 shown]
	v_fma_f32 v0, 0xbf788fa5, v0, -v5
	v_add_f32_e32 v5, v230, v233
	v_fmamk_f32 v133, v4, 0x3f116cb1, v132
	v_add_f32_e32 v6, v100, v6
	v_add_f32_e32 v11, v100, v11
	v_add_f32_e32 v10, v100, v10
	v_add_f32_e32 v15, v100, v15
	v_add_f32_e32 v14, v100, v14
	v_add_f32_e32 v19, v100, v19
	v_add_f32_e32 v18, v100, v18
	v_add_f32_e32 v23, v100, v23
	v_add_f32_e32 v22, v100, v22
	v_add_f32_e32 v130, v100, v130
	v_add_f32_e32 v0, v100, v0
	v_sub_f32_e32 v100, v229, v232
	v_add_f32_e32 v7, v133, v7
	v_mul_f32_e32 v133, 0x3f116cb1, v5
	v_fma_f32 v132, 0x3f116cb1, v4, -v132
	v_add_f32_e32 v135, v110, v214
	v_sub_f32_e32 v209, v110, v214
	v_sub_f32_e32 v214, v111, v215
	v_fmamk_f32 v134, v100, 0x3f52af12, v133
	v_add_f32_e32 v6, v132, v6
	v_fmac_f32_e32 v133, 0xbf52af12, v100
	v_mul_f32_e32 v132, 0xbf6f5d39, v101
	v_add_f32_e32 v136, v111, v215
	v_add_f32_e32 v9, v134, v9
	;; [unrolled: 1-line block ×4, first 2 shown]
	v_fmamk_f32 v133, v4, 0xbeb58ec6, v132
	v_fma_f32 v132, 0xbeb58ec6, v4, -v132
	v_add_f32_e32 v11, v133, v11
	v_mul_f32_e32 v133, 0xbeb58ec6, v5
	v_add_f32_e32 v10, v132, v10
	v_mul_f32_e32 v132, 0xbe750f2a, v101
	v_fmamk_f32 v134, v100, 0x3f6f5d39, v133
	v_fmac_f32_e32 v133, 0xbf6f5d39, v100
	v_add_f32_e32 v13, v134, v13
	v_add_f32_e32 v12, v133, v12
	v_fmamk_f32 v133, v4, 0xbf788fa5, v132
	v_fma_f32 v132, 0xbf788fa5, v4, -v132
	v_add_f32_e32 v15, v133, v15
	v_mul_f32_e32 v133, 0xbf788fa5, v5
	v_add_f32_e32 v14, v132, v14
	v_mul_f32_e32 v132, 0x3f29c268, v101
	v_fmamk_f32 v134, v100, 0x3e750f2a, v133
	v_fmac_f32_e32 v133, 0xbe750f2a, v100
	v_add_f32_e32 v17, v134, v17
	v_add_f32_e32 v16, v133, v16
	v_fmamk_f32 v133, v4, 0xbf3f9e67, v132
	v_fma_f32 v132, 0xbf3f9e67, v4, -v132
	v_add_f32_e32 v19, v133, v19
	v_mul_f32_e32 v133, 0xbf3f9e67, v5
	v_add_f32_e32 v18, v132, v18
	v_mul_f32_e32 v132, 0x3f7e222b, v101
	v_mul_f32_e32 v101, 0x3eedf032, v101
	v_fmamk_f32 v134, v100, 0xbf29c268, v133
	v_fmac_f32_e32 v133, 0x3f29c268, v100
	v_add_f32_e32 v21, v134, v21
	v_add_f32_e32 v20, v133, v20
	v_fmamk_f32 v133, v4, 0x3df6dbef, v132
	v_fma_f32 v132, 0x3df6dbef, v4, -v132
	v_add_f32_e32 v23, v133, v23
	v_mul_f32_e32 v133, 0x3df6dbef, v5
	v_add_f32_e32 v22, v132, v22
	v_fmamk_f32 v132, v4, 0x3f62ad3f, v101
	v_mul_f32_e32 v5, 0x3f62ad3f, v5
	v_fma_f32 v4, 0x3f62ad3f, v4, -v101
	v_sub_f32_e32 v101, v226, v228
	v_fmamk_f32 v134, v100, 0xbf7e222b, v133
	v_add_f32_e32 v130, v132, v130
	v_fmamk_f32 v132, v100, 0xbeedf032, v5
	v_fmac_f32_e32 v133, 0x3f7e222b, v100
	v_add_f32_e32 v0, v4, v0
	v_fmac_f32_e32 v5, 0x3eedf032, v100
	v_add_f32_e32 v4, v225, v227
	v_add_f32_e32 v131, v132, v131
	v_mul_f32_e32 v132, 0xbf7e222b, v101
	v_add_f32_e32 v128, v133, v128
	v_add_f32_e32 v1, v5, v1
	v_add_f32_e32 v5, v226, v228
	v_sub_f32_e32 v100, v225, v227
	v_fmamk_f32 v133, v4, 0x3df6dbef, v132
	v_fma_f32 v132, 0x3df6dbef, v4, -v132
	v_add_f32_e32 v129, v134, v129
	v_add_f32_e32 v7, v133, v7
	v_mul_f32_e32 v133, 0x3df6dbef, v5
	v_add_f32_e32 v6, v132, v6
	v_mul_f32_e32 v132, 0xbe750f2a, v101
	v_fmamk_f32 v134, v100, 0x3f7e222b, v133
	v_fmac_f32_e32 v133, 0xbf7e222b, v100
	v_add_f32_e32 v9, v134, v9
	v_add_f32_e32 v8, v133, v8
	v_fmamk_f32 v133, v4, 0xbf788fa5, v132
	v_fma_f32 v132, 0xbf788fa5, v4, -v132
	v_add_f32_e32 v11, v133, v11
	v_mul_f32_e32 v133, 0xbf788fa5, v5
	v_add_f32_e32 v10, v132, v10
	v_mul_f32_e32 v132, 0x3f6f5d39, v101
	v_fmamk_f32 v134, v100, 0x3e750f2a, v133
	v_fmac_f32_e32 v133, 0xbe750f2a, v100
	v_add_f32_e32 v13, v134, v13
	v_add_f32_e32 v12, v133, v12
	v_fmamk_f32 v133, v4, 0xbeb58ec6, v132
	v_fma_f32 v132, 0xbeb58ec6, v4, -v132
	;; [unrolled: 10-line block ×3, first 2 shown]
	v_add_f32_e32 v19, v133, v19
	v_mul_f32_e32 v133, 0x3f62ad3f, v5
	v_add_f32_e32 v18, v132, v18
	v_mul_f32_e32 v132, 0xbf52af12, v101
	v_mul_f32_e32 v101, 0xbf29c268, v101
	v_fmamk_f32 v134, v100, 0xbeedf032, v133
	v_fmac_f32_e32 v133, 0x3eedf032, v100
	v_add_f32_e32 v21, v134, v21
	v_add_f32_e32 v20, v133, v20
	v_fmamk_f32 v133, v4, 0x3f116cb1, v132
	v_fma_f32 v132, 0x3f116cb1, v4, -v132
	v_add_f32_e32 v23, v133, v23
	v_mul_f32_e32 v133, 0x3f116cb1, v5
	v_add_f32_e32 v22, v132, v22
	v_fmamk_f32 v132, v4, 0xbf3f9e67, v101
	v_mul_f32_e32 v5, 0xbf3f9e67, v5
	v_fma_f32 v4, 0xbf3f9e67, v4, -v101
	v_sub_f32_e32 v101, v222, v224
	v_fmamk_f32 v134, v100, 0x3f52af12, v133
	v_add_f32_e32 v130, v132, v130
	v_fmamk_f32 v132, v100, 0x3f29c268, v5
	v_fmac_f32_e32 v133, 0xbf52af12, v100
	v_add_f32_e32 v0, v4, v0
	v_fmac_f32_e32 v5, 0xbf29c268, v100
	v_add_f32_e32 v4, v221, v223
	v_add_f32_e32 v131, v132, v131
	v_mul_f32_e32 v132, 0xbf6f5d39, v101
	v_add_f32_e32 v128, v133, v128
	v_add_f32_e32 v1, v5, v1
	v_add_f32_e32 v5, v222, v224
	v_sub_f32_e32 v100, v221, v223
	v_fmamk_f32 v133, v4, 0xbeb58ec6, v132
	v_fma_f32 v132, 0xbeb58ec6, v4, -v132
	v_add_f32_e32 v129, v134, v129
	v_add_f32_e32 v7, v133, v7
	v_mul_f32_e32 v133, 0xbeb58ec6, v5
	v_add_f32_e32 v6, v132, v6
	v_mul_f32_e32 v132, 0x3f29c268, v101
	v_fmamk_f32 v134, v100, 0x3f6f5d39, v133
	v_fmac_f32_e32 v133, 0xbf6f5d39, v100
	v_add_f32_e32 v9, v134, v9
	v_add_f32_e32 v8, v133, v8
	v_fmamk_f32 v133, v4, 0xbf3f9e67, v132
	v_fma_f32 v132, 0xbf3f9e67, v4, -v132
	v_add_f32_e32 v11, v133, v11
	v_mul_f32_e32 v133, 0xbf3f9e67, v5
	v_add_f32_e32 v10, v132, v10
	v_mul_f32_e32 v132, 0x3eedf032, v101
	v_fmamk_f32 v134, v100, 0xbf29c268, v133
	v_fmac_f32_e32 v133, 0x3f29c268, v100
	v_add_f32_e32 v13, v134, v13
	v_add_f32_e32 v12, v133, v12
	v_fmamk_f32 v133, v4, 0x3f62ad3f, v132
	v_fma_f32 v132, 0x3f62ad3f, v4, -v132
	v_add_f32_e32 v15, v133, v15
	v_mul_f32_e32 v133, 0x3f62ad3f, v5
	v_add_f32_e32 v14, v132, v14
	v_mul_f32_e32 v132, 0xbf7e222b, v101
	v_fmamk_f32 v134, v100, 0xbeedf032, v133
	v_fmac_f32_e32 v133, 0x3eedf032, v100
	v_add_f32_e32 v17, v134, v17
	v_add_f32_e32 v16, v133, v16
	v_fmamk_f32 v133, v4, 0x3df6dbef, v132
	v_fma_f32 v132, 0x3df6dbef, v4, -v132
	v_add_f32_e32 v19, v133, v19
	v_mul_f32_e32 v133, 0x3df6dbef, v5
	v_add_f32_e32 v18, v132, v18
	v_mul_f32_e32 v132, 0x3e750f2a, v101
	v_mul_f32_e32 v101, 0x3f52af12, v101
	v_fmamk_f32 v134, v100, 0x3f7e222b, v133
	v_fmac_f32_e32 v133, 0xbf7e222b, v100
	v_add_f32_e32 v21, v134, v21
	v_add_f32_e32 v20, v133, v20
	v_fmamk_f32 v133, v4, 0xbf788fa5, v132
	v_fma_f32 v132, 0xbf788fa5, v4, -v132
	v_add_f32_e32 v23, v133, v23
	v_mul_f32_e32 v133, 0xbf788fa5, v5
	v_add_f32_e32 v22, v132, v22
	v_fmamk_f32 v132, v4, 0x3f116cb1, v101
	v_mul_f32_e32 v5, 0x3f116cb1, v5
	v_fma_f32 v4, 0x3f116cb1, v4, -v101
	v_sub_f32_e32 v101, v217, v220
	v_fmamk_f32 v134, v100, 0xbe750f2a, v133
	v_add_f32_e32 v130, v132, v130
	v_fmamk_f32 v132, v100, 0xbf52af12, v5
	v_fmac_f32_e32 v133, 0x3e750f2a, v100
	v_add_f32_e32 v0, v4, v0
	v_fmac_f32_e32 v5, 0x3f52af12, v100
	v_add_f32_e32 v4, v216, v219
	v_add_f32_e32 v131, v132, v131
	v_mul_f32_e32 v132, 0xbf29c268, v101
	v_add_f32_e32 v128, v133, v128
	v_add_f32_e32 v1, v5, v1
	;; [unrolled: 1-line block ×3, first 2 shown]
	v_sub_f32_e32 v100, v216, v219
	v_fmamk_f32 v133, v4, 0xbf3f9e67, v132
	v_fma_f32 v132, 0xbf3f9e67, v4, -v132
	v_add_f32_e32 v129, v134, v129
	v_add_f32_e32 v216, v197, v198
	;; [unrolled: 1-line block ×3, first 2 shown]
	v_mul_f32_e32 v133, 0xbf3f9e67, v5
	v_add_f32_e32 v6, v132, v6
	v_mul_f32_e32 v132, 0x3f7e222b, v101
	v_mul_f32_e32 v220, 0xbeb58ec6, v216
	v_mul_f32_e32 v224, 0xbf3f9e67, v216
	v_fmamk_f32 v134, v100, 0x3f29c268, v133
	v_fmac_f32_e32 v133, 0xbf29c268, v100
	v_add_f32_e32 v9, v134, v9
	v_add_f32_e32 v8, v133, v8
	v_fmamk_f32 v133, v4, 0x3df6dbef, v132
	v_fma_f32 v132, 0x3df6dbef, v4, -v132
	v_add_f32_e32 v11, v133, v11
	v_mul_f32_e32 v133, 0x3df6dbef, v5
	v_add_f32_e32 v10, v132, v10
	v_mul_f32_e32 v132, 0xbf52af12, v101
	v_fmamk_f32 v134, v100, 0xbf7e222b, v133
	v_fmac_f32_e32 v133, 0x3f7e222b, v100
	v_add_f32_e32 v13, v134, v13
	v_add_f32_e32 v12, v133, v12
	v_fmamk_f32 v133, v4, 0x3f116cb1, v132
	v_fma_f32 v132, 0x3f116cb1, v4, -v132
	v_add_f32_e32 v15, v133, v15
	v_mul_f32_e32 v133, 0x3f116cb1, v5
	v_add_f32_e32 v14, v132, v14
	v_mul_f32_e32 v132, 0x3e750f2a, v101
	;; [unrolled: 10-line block ×3, first 2 shown]
	v_fmamk_f32 v134, v100, 0xbe750f2a, v133
	v_fmac_f32_e32 v133, 0x3e750f2a, v100
	v_add_f32_e32 v21, v134, v21
	v_add_f32_e32 v20, v133, v20
	v_fmamk_f32 v133, v4, 0x3f62ad3f, v18
	v_fma_f32 v18, 0x3f62ad3f, v4, -v18
	v_add_f32_e32 v133, v133, v23
	v_mul_f32_e32 v23, 0x3f62ad3f, v5
	v_mul_f32_e32 v5, 0xbeb58ec6, v5
	v_fmamk_f32 v134, v100, 0xbeedf032, v23
	v_fmac_f32_e32 v23, 0x3eedf032, v100
	v_add_f32_e32 v129, v134, v129
	v_add_f32_e32 v134, v18, v22
	v_mul_f32_e32 v18, 0xbf6f5d39, v101
	v_add_f32_e32 v128, v23, v128
	v_fmamk_f32 v22, v4, 0xbeb58ec6, v18
	v_fma_f32 v4, 0xbeb58ec6, v4, -v18
	v_add_f32_e32 v130, v22, v130
	v_fmamk_f32 v22, v100, 0x3f6f5d39, v5
	v_add_f32_e32 v0, v4, v0
	v_fmac_f32_e32 v5, 0xbf6f5d39, v100
	v_mul_f32_e32 v4, 0xbe750f2a, v214
	v_add_f32_e32 v131, v22, v131
	v_add_f32_e32 v1, v5, v1
	v_fmamk_f32 v5, v135, 0xbf788fa5, v4
	v_fma_f32 v4, 0xbf788fa5, v135, -v4
	v_add_f32_e32 v110, v5, v7
	v_mul_f32_e32 v5, 0xbf788fa5, v136
	v_add_f32_e32 v4, v4, v6
	v_mul_f32_e32 v6, 0x3eedf032, v214
	v_fmamk_f32 v7, v209, 0x3e750f2a, v5
	v_fmac_f32_e32 v5, 0xbe750f2a, v209
	v_add_f32_e32 v111, v7, v9
	v_fmamk_f32 v7, v135, 0x3f62ad3f, v6
	v_add_f32_e32 v5, v5, v8
	v_fma_f32 v6, 0x3f62ad3f, v135, -v6
	v_add_f32_e32 v22, v7, v11
	v_mul_f32_e32 v7, 0x3f62ad3f, v136
	v_add_f32_e32 v6, v6, v10
	v_fmamk_f32 v8, v209, 0xbeedf032, v7
	v_fmac_f32_e32 v7, 0x3eedf032, v209
	v_add_f32_e32 v23, v8, v13
	v_mul_f32_e32 v8, 0xbf29c268, v214
	v_add_f32_e32 v7, v7, v12
	v_fmamk_f32 v9, v135, 0xbf3f9e67, v8
	v_fma_f32 v8, 0xbf3f9e67, v135, -v8
	v_add_f32_e32 v100, v9, v15
	v_mul_f32_e32 v9, 0xbf3f9e67, v136
	v_add_f32_e32 v8, v8, v14
	v_fmamk_f32 v10, v209, 0x3f29c268, v9
	v_fmac_f32_e32 v9, 0xbf29c268, v209
	v_add_f32_e32 v101, v10, v17
	v_mul_f32_e32 v10, 0x3f52af12, v214
	v_mul_f32_e32 v17, 0x3df6dbef, v136
	v_add_f32_e32 v9, v9, v16
	v_mul_f32_e32 v16, 0x3f7e222b, v214
	v_fmamk_f32 v11, v135, 0x3f116cb1, v10
	v_fmamk_f32 v15, v209, 0xbf7e222b, v17
	v_fmac_f32_e32 v17, 0x3f7e222b, v209
	v_fma_f32 v10, 0x3f116cb1, v135, -v10
	v_add_f32_e32 v18, v11, v19
	v_mul_f32_e32 v11, 0x3f116cb1, v136
	v_add_f32_e32 v17, v17, v1
	v_add_f32_e32 v1, v103, v197
	;; [unrolled: 1-line block ×3, first 2 shown]
	v_mul_f32_e32 v131, 0x3f62ad3f, v216
	v_fmamk_f32 v12, v209, 0xbf52af12, v11
	v_fmac_f32_e32 v11, 0x3f52af12, v209
	v_add_f32_e32 v1, v1, v192
	v_add_f32_e32 v10, v10, v132
	;; [unrolled: 1-line block ×3, first 2 shown]
	v_mul_f32_e32 v12, 0xbf6f5d39, v214
	v_add_f32_e32 v11, v11, v20
	v_add_f32_e32 v1, v1, v188
	v_sub_f32_e32 v214, v218, v231
	v_fmamk_f32 v13, v135, 0xbeb58ec6, v12
	v_fma_f32 v12, 0xbeb58ec6, v135, -v12
	v_add_f32_e32 v1, v1, v119
	v_fmamk_f32 v132, v214, 0x3eedf032, v131
	v_fmac_f32_e32 v131, 0xbeedf032, v214
	v_add_f32_e32 v20, v13, v133
	v_mul_f32_e32 v13, 0xbeb58ec6, v136
	v_add_f32_e32 v1, v1, v117
	v_add_f32_e32 v12, v12, v134
	v_fmamk_f32 v221, v214, 0x3f6f5d39, v220
	v_fmac_f32_e32 v220, 0xbf6f5d39, v214
	v_fmamk_f32 v14, v209, 0x3f6f5d39, v13
	v_add_f32_e32 v1, v1, v113
	v_fmac_f32_e32 v13, 0xbf6f5d39, v209
	v_mul_f32_e32 v209, 0x3df6dbef, v216
	v_fmamk_f32 v225, v214, 0x3f29c268, v224
	v_add_f32_e32 v21, v14, v129
	v_fmamk_f32 v14, v135, 0x3df6dbef, v16
	v_fma_f32 v16, 0x3df6dbef, v135, -v16
	v_add_f32_e32 v1, v1, v115
	v_add_f32_e32 v13, v13, v128
	v_sub_f32_e32 v128, v197, v198
	v_mul_f32_e32 v135, 0x3f116cb1, v216
	v_add_f32_e32 v16, v16, v0
	v_add_f32_e32 v0, v102, v218
	;; [unrolled: 1-line block ×3, first 2 shown]
	v_mul_f32_e32 v129, 0xbeedf032, v128
	v_mul_f32_e32 v133, 0xbf52af12, v128
	;; [unrolled: 1-line block ×3, first 2 shown]
	v_add_f32_e32 v0, v0, v191
	v_add_f32_e32 v1, v1, v190
	v_mul_f32_e32 v218, 0xbf6f5d39, v128
	v_mul_f32_e32 v222, 0xbf29c268, v128
	;; [unrolled: 1-line block ×3, first 2 shown]
	v_add_f32_e32 v0, v0, v187
	v_add_f32_e32 v1, v1, v194
	v_mul_f32_e32 v216, 0xbf788fa5, v216
	v_add_f32_e32 v14, v14, v130
	v_fmamk_f32 v130, v215, 0x3f62ad3f, v129
	v_add_f32_e32 v0, v0, v118
	v_add_f32_e32 v1, v1, v196
	v_fma_f32 v129, 0x3f62ad3f, v215, -v129
	v_fmamk_f32 v134, v215, 0x3f116cb1, v133
	v_fmamk_f32 v136, v214, 0x3f52af12, v135
	v_add_f32_e32 v0, v0, v116
	v_add_f32_e32 v1, v1, v198
	v_fma_f32 v133, 0x3f116cb1, v215, -v133
	v_fmac_f32_e32 v135, 0xbf52af12, v214
	v_fmamk_f32 v198, v215, 0x3df6dbef, v197
	v_add_f32_e32 v0, v0, v112
	v_fmamk_f32 v217, v214, 0x3f7e222b, v209
	v_fma_f32 v197, 0x3df6dbef, v215, -v197
	v_fmac_f32_e32 v209, 0xbf7e222b, v214
	v_fmamk_f32 v219, v215, 0xbeb58ec6, v218
	v_add_f32_e32 v0, v0, v114
	v_fma_f32 v218, 0xbeb58ec6, v215, -v218
	v_fmamk_f32 v223, v215, 0xbf3f9e67, v222
	v_fma_f32 v222, 0xbf3f9e67, v215, -v222
	v_fmac_f32_e32 v224, 0xbf29c268, v214
	v_add_f32_e32 v0, v0, v185
	v_fmamk_f32 v226, v215, 0xbf788fa5, v128
	v_fmamk_f32 v227, v214, 0x3e750f2a, v216
	v_fma_f32 v128, 0xbf788fa5, v215, -v128
	v_fmac_f32_e32 v216, 0xbe750f2a, v214
	v_add_f32_e32 v0, v0, v189
	v_add_f32_e32 v214, v192, v196
	v_sub_f32_e32 v192, v192, v196
	v_add_f32_e32 v130, v102, v130
	v_add_f32_e32 v129, v102, v129
	;; [unrolled: 1-line block ×15, first 2 shown]
	v_sub_f32_e32 v191, v191, v195
	v_mul_f32_e32 v195, 0xbf52af12, v192
	v_add_f32_e32 v131, v103, v131
	v_add_f32_e32 v132, v103, v132
	v_add_f32_e32 v135, v103, v135
	v_add_f32_e32 v136, v103, v136
	v_fmamk_f32 v196, v128, 0x3f116cb1, v195
	v_fma_f32 v195, 0x3f116cb1, v128, -v195
	v_add_f32_e32 v209, v103, v209
	v_add_f32_e32 v217, v103, v217
	;; [unrolled: 1-line block ×4, first 2 shown]
	v_mul_f32_e32 v196, 0x3f116cb1, v214
	v_add_f32_e32 v129, v195, v129
	v_mul_f32_e32 v195, 0xbf6f5d39, v192
	v_add_f32_e32 v220, v103, v220
	v_add_f32_e32 v225, v103, v225
	v_fmamk_f32 v215, v191, 0x3f52af12, v196
	v_fmac_f32_e32 v196, 0xbf52af12, v191
	v_add_f32_e32 v224, v103, v224
	v_add_f32_e32 v227, v103, v227
	;; [unrolled: 1-line block ×5, first 2 shown]
	v_fmamk_f32 v196, v128, 0xbeb58ec6, v195
	v_fma_f32 v195, 0xbeb58ec6, v128, -v195
	v_mul_f32_e32 v216, 0xbf3f9e67, v214
	v_add_f32_e32 v0, v0, v231
	v_add_f32_e32 v134, v196, v134
	v_mul_f32_e32 v196, 0xbeb58ec6, v214
	v_add_f32_e32 v133, v195, v133
	v_mul_f32_e32 v195, 0xbe750f2a, v192
	v_fmamk_f32 v215, v191, 0x3f6f5d39, v196
	v_fmac_f32_e32 v196, 0xbf6f5d39, v191
	v_add_f32_e32 v136, v215, v136
	v_add_f32_e32 v135, v196, v135
	v_fmamk_f32 v196, v128, 0xbf788fa5, v195
	v_fma_f32 v195, 0xbf788fa5, v128, -v195
	v_add_f32_e32 v196, v196, v198
	v_mul_f32_e32 v198, 0xbf788fa5, v214
	v_add_f32_e32 v195, v195, v197
	v_fmamk_f32 v215, v191, 0x3e750f2a, v198
	v_fmac_f32_e32 v198, 0xbe750f2a, v191
	v_add_f32_e32 v215, v215, v217
	v_add_f32_e32 v197, v198, v209
	v_mul_f32_e32 v198, 0x3f29c268, v192
	v_fmamk_f32 v217, v191, 0xbf29c268, v216
	v_fmac_f32_e32 v216, 0x3f29c268, v191
	v_fmamk_f32 v209, v128, 0xbf3f9e67, v198
	v_fma_f32 v198, 0xbf3f9e67, v128, -v198
	v_add_f32_e32 v216, v216, v220
	v_mul_f32_e32 v220, 0x3df6dbef, v214
	v_mul_f32_e32 v214, 0x3f62ad3f, v214
	v_add_f32_e32 v209, v209, v219
	v_add_f32_e32 v198, v198, v218
	v_mul_f32_e32 v218, 0x3f7e222b, v192
	v_mul_f32_e32 v192, 0x3eedf032, v192
	v_add_f32_e32 v217, v217, v221
	v_fmamk_f32 v221, v191, 0xbf7e222b, v220
	v_fmac_f32_e32 v220, 0x3f7e222b, v191
	v_fmamk_f32 v219, v128, 0x3df6dbef, v218
	v_fma_f32 v218, 0x3df6dbef, v128, -v218
	v_add_f32_e32 v221, v221, v225
	v_add_f32_e32 v220, v220, v224
	;; [unrolled: 1-line block ×4, first 2 shown]
	v_fmamk_f32 v222, v128, 0x3f62ad3f, v192
	v_fmamk_f32 v223, v191, 0xbeedf032, v214
	v_fma_f32 v128, 0x3f62ad3f, v128, -v192
	v_fmac_f32_e32 v214, 0x3eedf032, v191
	v_add_f32_e32 v191, v188, v194
	v_sub_f32_e32 v188, v188, v194
	v_add_f32_e32 v222, v222, v226
	v_add_f32_e32 v102, v128, v102
	;; [unrolled: 1-line block ×3, first 2 shown]
	v_sub_f32_e32 v187, v187, v193
	v_mul_f32_e32 v192, 0xbf7e222b, v188
	v_add_f32_e32 v103, v214, v103
	v_add_f32_e32 v223, v223, v227
	v_sub_f32_e32 v224, v113, v115
	v_fmamk_f32 v193, v128, 0x3df6dbef, v192
	v_fma_f32 v192, 0x3df6dbef, v128, -v192
	v_add_f32_e32 v130, v193, v130
	v_mul_f32_e32 v193, 0x3df6dbef, v191
	v_add_f32_e32 v129, v192, v129
	v_mul_f32_e32 v192, 0xbe750f2a, v188
	v_fmamk_f32 v194, v187, 0x3f7e222b, v193
	v_fmac_f32_e32 v193, 0xbf7e222b, v187
	v_add_f32_e32 v132, v194, v132
	v_add_f32_e32 v131, v193, v131
	v_fmamk_f32 v193, v128, 0xbf788fa5, v192
	v_fma_f32 v192, 0xbf788fa5, v128, -v192
	v_add_f32_e32 v134, v193, v134
	v_mul_f32_e32 v193, 0xbf788fa5, v191
	v_add_f32_e32 v133, v192, v133
	v_mul_f32_e32 v192, 0x3f6f5d39, v188
	v_fmamk_f32 v194, v187, 0x3e750f2a, v193
	v_fmac_f32_e32 v193, 0xbe750f2a, v187
	v_add_f32_e32 v136, v194, v136
	v_add_f32_e32 v135, v193, v135
	v_fmamk_f32 v193, v128, 0xbeb58ec6, v192
	v_mul_f32_e32 v194, 0xbeb58ec6, v191
	v_fma_f32 v192, 0xbeb58ec6, v128, -v192
	v_add_f32_e32 v193, v193, v196
	v_fmamk_f32 v196, v187, 0xbf6f5d39, v194
	v_add_f32_e32 v192, v192, v195
	v_fmac_f32_e32 v194, 0x3f6f5d39, v187
	v_mul_f32_e32 v195, 0x3eedf032, v188
	v_add_f32_e32 v196, v196, v215
	v_add_f32_e32 v194, v194, v197
	v_fmamk_f32 v197, v128, 0x3f62ad3f, v195
	v_fma_f32 v195, 0x3f62ad3f, v128, -v195
	v_add_f32_e32 v197, v197, v209
	v_mul_f32_e32 v209, 0x3f62ad3f, v191
	v_add_f32_e32 v195, v195, v198
	v_fmamk_f32 v214, v187, 0xbeedf032, v209
	v_fmac_f32_e32 v209, 0x3eedf032, v187
	v_add_f32_e32 v214, v214, v217
	v_add_f32_e32 v198, v209, v216
	v_mul_f32_e32 v209, 0xbf52af12, v188
	v_mul_f32_e32 v216, 0x3f116cb1, v191
	v_mul_f32_e32 v188, 0xbf29c268, v188
	v_mul_f32_e32 v191, 0xbf3f9e67, v191
	v_fmamk_f32 v215, v128, 0x3f116cb1, v209
	v_fma_f32 v209, 0x3f116cb1, v128, -v209
	v_fmamk_f32 v217, v187, 0x3f52af12, v216
	v_fmac_f32_e32 v216, 0xbf52af12, v187
	v_add_f32_e32 v215, v215, v219
	v_add_f32_e32 v209, v209, v218
	v_fmamk_f32 v218, v128, 0xbf3f9e67, v188
	v_fmamk_f32 v219, v187, 0x3f29c268, v191
	v_fma_f32 v128, 0xbf3f9e67, v128, -v188
	v_fmac_f32_e32 v191, 0xbf29c268, v187
	v_add_f32_e32 v187, v119, v190
	v_sub_f32_e32 v119, v119, v190
	v_add_f32_e32 v217, v217, v221
	v_add_f32_e32 v102, v128, v102
	;; [unrolled: 1-line block ×3, first 2 shown]
	v_sub_f32_e32 v118, v118, v189
	v_mul_f32_e32 v188, 0xbf6f5d39, v119
	v_add_f32_e32 v103, v191, v103
	v_add_f32_e32 v216, v216, v220
	;; [unrolled: 1-line block ×4, first 2 shown]
	v_fmamk_f32 v189, v128, 0xbeb58ec6, v188
	v_fma_f32 v188, 0xbeb58ec6, v128, -v188
	v_add_f32_e32 v221, v112, v114
	v_add_f32_e32 v222, v113, v115
	v_sub_f32_e32 v223, v112, v114
	v_add_f32_e32 v130, v189, v130
	v_mul_f32_e32 v189, 0xbeb58ec6, v187
	v_add_f32_e32 v129, v188, v129
	v_mul_f32_e32 v188, 0x3f29c268, v119
	v_fmamk_f32 v190, v118, 0x3f6f5d39, v189
	v_fmac_f32_e32 v189, 0xbf6f5d39, v118
	v_add_f32_e32 v132, v190, v132
	v_add_f32_e32 v131, v189, v131
	v_fmamk_f32 v189, v128, 0xbf3f9e67, v188
	v_fma_f32 v188, 0xbf3f9e67, v128, -v188
	v_add_f32_e32 v134, v189, v134
	v_mul_f32_e32 v189, 0xbf3f9e67, v187
	v_add_f32_e32 v133, v188, v133
	v_mul_f32_e32 v188, 0x3eedf032, v119
	v_fmamk_f32 v190, v118, 0xbf29c268, v189
	v_fmac_f32_e32 v189, 0x3f29c268, v118
	v_add_f32_e32 v136, v190, v136
	v_add_f32_e32 v135, v189, v135
	v_fmamk_f32 v189, v128, 0x3f62ad3f, v188
	v_fma_f32 v188, 0x3f62ad3f, v128, -v188
	v_mul_f32_e32 v190, 0x3f62ad3f, v187
	v_add_f32_e32 v189, v189, v193
	v_add_f32_e32 v188, v188, v192
	v_mul_f32_e32 v192, 0xbf7e222b, v119
	v_fmamk_f32 v191, v118, 0xbeedf032, v190
	v_fmac_f32_e32 v190, 0x3eedf032, v118
	v_fmamk_f32 v193, v128, 0x3df6dbef, v192
	v_fma_f32 v192, 0x3df6dbef, v128, -v192
	v_add_f32_e32 v190, v190, v194
	v_mul_f32_e32 v194, 0x3df6dbef, v187
	v_add_f32_e32 v191, v191, v196
	v_add_f32_e32 v193, v193, v197
	v_add_f32_e32 v192, v192, v195
	v_mul_f32_e32 v195, 0x3e750f2a, v119
	v_mul_f32_e32 v119, 0x3f52af12, v119
	v_fmamk_f32 v196, v118, 0x3f7e222b, v194
	v_fmac_f32_e32 v194, 0xbf7e222b, v118
	v_fmamk_f32 v197, v128, 0xbf788fa5, v195
	v_fma_f32 v195, 0xbf788fa5, v128, -v195
	v_add_f32_e32 v196, v196, v214
	v_add_f32_e32 v194, v194, v198
	v_mul_f32_e32 v198, 0xbf788fa5, v187
	v_mul_f32_e32 v187, 0x3f116cb1, v187
	v_add_f32_e32 v195, v195, v209
	v_fmamk_f32 v209, v128, 0x3f116cb1, v119
	v_fma_f32 v119, 0x3f116cb1, v128, -v119
	v_add_f32_e32 v197, v197, v215
	v_fmamk_f32 v214, v118, 0xbe750f2a, v198
	v_fmac_f32_e32 v198, 0x3e750f2a, v118
	v_fmamk_f32 v215, v118, 0xbf52af12, v187
	v_add_f32_e32 v102, v119, v102
	v_add_f32_e32 v119, v117, v186
	v_sub_f32_e32 v117, v117, v186
	v_fmac_f32_e32 v187, 0x3f52af12, v118
	v_add_f32_e32 v118, v116, v185
	v_sub_f32_e32 v116, v116, v185
	v_add_f32_e32 v214, v214, v217
	v_mul_f32_e32 v128, 0xbf29c268, v117
	v_add_f32_e32 v103, v187, v103
	v_add_f32_e32 v198, v198, v216
	;; [unrolled: 1-line block ×4, first 2 shown]
	v_fmamk_f32 v185, v118, 0xbf3f9e67, v128
	v_fma_f32 v128, 0xbf3f9e67, v118, -v128
	v_add_f32_e32 v130, v185, v130
	v_mul_f32_e32 v185, 0xbf3f9e67, v119
	v_add_f32_e32 v128, v128, v129
	v_fmamk_f32 v186, v116, 0x3f29c268, v185
	v_fmac_f32_e32 v185, 0xbf29c268, v116
	v_add_f32_e32 v132, v186, v132
	v_add_f32_e32 v129, v185, v131
	v_mul_f32_e32 v131, 0x3f7e222b, v117
	v_fmamk_f32 v185, v118, 0x3df6dbef, v131
	v_fma_f32 v131, 0x3df6dbef, v118, -v131
	v_add_f32_e32 v134, v185, v134
	v_mul_f32_e32 v185, 0x3df6dbef, v119
	v_add_f32_e32 v131, v131, v133
	v_fmamk_f32 v186, v116, 0xbf7e222b, v185
	v_fmac_f32_e32 v185, 0x3f7e222b, v116
	v_add_f32_e32 v136, v186, v136
	v_add_f32_e32 v133, v185, v135
	v_mul_f32_e32 v135, 0xbf52af12, v117
	v_mul_f32_e32 v186, 0x3f116cb1, v119
	v_fmamk_f32 v185, v118, 0x3f116cb1, v135
	v_fmamk_f32 v187, v116, 0x3f52af12, v186
	v_fma_f32 v135, 0x3f116cb1, v118, -v135
	v_fmac_f32_e32 v186, 0xbf52af12, v116
	v_add_f32_e32 v185, v185, v189
	v_add_f32_e32 v187, v187, v191
	v_add_f32_e32 v135, v135, v188
	v_add_f32_e32 v186, v186, v190
	v_mul_f32_e32 v188, 0x3e750f2a, v117
	v_mul_f32_e32 v190, 0xbf788fa5, v119
	v_fmamk_f32 v189, v118, 0xbf788fa5, v188
	v_fmamk_f32 v191, v116, 0xbe750f2a, v190
	v_fma_f32 v188, 0xbf788fa5, v118, -v188
	v_fmac_f32_e32 v190, 0x3e750f2a, v116
	v_add_f32_e32 v189, v189, v193
	v_add_f32_e32 v191, v191, v196
	;; [unrolled: 1-line block ×4, first 2 shown]
	v_mul_f32_e32 v190, 0x3eedf032, v117
	v_mul_f32_e32 v117, 0xbf6f5d39, v117
	v_fmamk_f32 v193, v118, 0x3f62ad3f, v190
	v_fma_f32 v190, 0x3f62ad3f, v118, -v190
	v_add_f32_e32 v216, v193, v197
	v_mul_f32_e32 v193, 0x3f62ad3f, v119
	v_add_f32_e32 v217, v190, v195
	v_fmamk_f32 v190, v118, 0xbeb58ec6, v117
	v_mul_f32_e32 v119, 0xbeb58ec6, v119
	v_fma_f32 v117, 0xbeb58ec6, v118, -v117
	v_fmamk_f32 v194, v116, 0xbeedf032, v193
	v_fmac_f32_e32 v193, 0x3eedf032, v116
	v_add_f32_e32 v209, v190, v209
	v_fmamk_f32 v190, v116, 0x3f6f5d39, v119
	v_add_f32_e32 v219, v117, v102
	v_fmac_f32_e32 v119, 0xbf6f5d39, v116
	v_mul_f32_e32 v102, 0xbe750f2a, v224
	v_add_f32_e32 v218, v193, v198
	v_add_f32_e32 v214, v194, v214
	;; [unrolled: 1-line block ×4, first 2 shown]
	v_fmamk_f32 v103, v221, 0xbf788fa5, v102
	v_fma_f32 v102, 0xbf788fa5, v221, -v102
	v_add_f32_e32 v197, v103, v130
	v_mul_f32_e32 v103, 0xbf788fa5, v222
	v_add_f32_e32 v102, v102, v128
	v_fmamk_f32 v112, v223, 0x3e750f2a, v103
	v_fmac_f32_e32 v103, 0xbe750f2a, v223
	v_add_f32_e32 v198, v112, v132
	v_mul_f32_e32 v112, 0x3eedf032, v224
	v_add_f32_e32 v103, v103, v129
	v_fmamk_f32 v113, v221, 0x3f62ad3f, v112
	v_fma_f32 v112, 0x3f62ad3f, v221, -v112
	v_add_f32_e32 v193, v113, v134
	v_mul_f32_e32 v113, 0x3f62ad3f, v222
	v_add_f32_e32 v112, v112, v131
	v_fmamk_f32 v114, v223, 0xbeedf032, v113
	v_fmac_f32_e32 v113, 0x3eedf032, v223
	v_add_f32_e32 v194, v114, v136
	v_mul_f32_e32 v114, 0xbf29c268, v224
	v_add_f32_e32 v113, v113, v133
	;; [unrolled: 10-line block ×5, first 2 shown]
	v_fmamk_f32 v129, v221, 0x3df6dbef, v128
	v_fma_f32 v128, 0x3df6dbef, v221, -v128
	v_add_f32_e32 v185, v129, v209
	v_mul_f32_e32 v129, 0x3df6dbef, v222
	v_add_f32_e32 v187, v128, v219
	v_fmamk_f32 v130, v223, 0xbf7e222b, v129
	v_fmac_f32_e32 v129, 0x3f7e222b, v223
	v_add_f32_e32 v186, v130, v215
	v_add_f32_e32 v188, v129, v220
	ds_write2_b64 v203, v[2:3], v[110:111] offset1:2
	ds_write2_b64 v203, v[22:23], v[100:101] offset0:4 offset1:6
	ds_write2_b64 v203, v[18:19], v[20:21] offset0:8 offset1:10
	;; [unrolled: 1-line block ×5, first 2 shown]
	ds_write_b64 v203, v[4:5] offset:192
	ds_write2_b64 v204, v[0:1], v[197:198] offset1:2
	ds_write2_b64 v204, v[193:194], v[195:196] offset0:4 offset1:6
	ds_write2_b64 v204, v[189:190], v[191:192] offset0:8 offset1:10
	;; [unrolled: 1-line block ×5, first 2 shown]
	ds_write_b64 v204, v[102:103] offset:192
	s_waitcnt lgkmcnt(0)
	s_barrier
	buffer_gl0_inv
	ds_read2_b64 v[0:3], v199 offset1:52
	ds_read2_b64 v[8:11], v199 offset0:104 offset1:156
	ds_read2_b64 v[100:103], v211 offset0:80 offset1:132
	;; [unrolled: 1-line block ×12, first 2 shown]
	s_waitcnt lgkmcnt(0)
	s_barrier
	buffer_gl0_inv
	v_mul_f32_e32 v118, v61, v9
	v_mul_f32_e32 v4, v61, v8
	;; [unrolled: 1-line block ×5, first 2 shown]
	v_fmac_f32_e32 v118, v60, v8
	v_fma_f32 v60, v60, v9, -v4
	v_mul_f32_e32 v4, v63, v100
	v_mul_f32_e32 v8, v53, v129
	;; [unrolled: 1-line block ×5, first 2 shown]
	v_fma_f32 v23, v62, v101, -v4
	v_mul_f32_e32 v4, v57, v110
	v_fmac_f32_e32 v8, v52, v128
	v_fmac_f32_e32 v6, v48, v185
	v_fma_f32 v7, v48, v186, -v7
	v_mul_f32_e32 v12, v51, v190
	v_fma_f32 v19, v56, v111, -v4
	v_mul_f32_e32 v4, v59, v114
	v_mul_f32_e32 v13, v51, v189
	;; [unrolled: 1-line block ×3, first 2 shown]
	v_fma_f32 v5, v54, v133, -v5
	v_fmac_f32_e32 v12, v50, v189
	v_fma_f32 v15, v58, v115, -v4
	v_mul_f32_e32 v4, v53, v128
	v_fma_f32 v13, v50, v190, -v13
	v_fmac_f32_e32 v22, v62, v100
	v_fmac_f32_e32 v18, v56, v110
	;; [unrolled: 1-line block ×3, first 2 shown]
	v_fma_f32 v9, v52, v129, -v4
	v_mul_f32_e32 v52, v45, v11
	v_mul_f32_e32 v4, v55, v133
	;; [unrolled: 1-line block ×5, first 2 shown]
	v_fmac_f32_e32 v52, v44, v10
	v_mul_f32_e32 v10, v45, v10
	v_fmac_f32_e32 v4, v54, v132
	v_fma_f32 v54, v64, v219, -v48
	v_mul_f32_e32 v48, v67, v222
	v_mul_f32_e32 v45, v41, v113
	v_fma_f32 v50, v44, v11, -v10
	v_mul_f32_e32 v10, v47, v102
	v_mul_f32_e32 v44, v43, v117
	v_fma_f32 v57, v66, v223, -v48
	v_mul_f32_e32 v48, v47, v103
	v_fmac_f32_e32 v45, v40, v112
	v_fma_f32 v47, v46, v103, -v10
	v_mul_f32_e32 v10, v41, v112
	v_fmac_f32_e32 v44, v42, v116
	v_fmac_f32_e32 v48, v46, v102
	v_add_f32_e32 v11, v1, v60
	v_fmac_f32_e32 v16, v68, v193
	v_fma_f32 v46, v40, v113, -v10
	v_mul_f32_e32 v10, v43, v116
	v_mul_f32_e32 v40, v37, v131
	v_add_f32_e32 v11, v11, v23
	v_fma_f32 v17, v68, v194, -v17
	v_fmac_f32_e32 v20, v70, v214
	v_fma_f32 v43, v42, v117, -v10
	v_mul_f32_e32 v10, v37, v130
	v_fmac_f32_e32 v40, v36, v130
	v_mul_f32_e32 v42, v31, v192
	v_add_f32_e32 v11, v11, v19
	v_mul_f32_e32 v21, v71, v214
	v_fma_f32 v41, v36, v131, -v10
	v_mul_f32_e32 v10, v39, v134
	v_mul_f32_e32 v36, v39, v135
	v_fmac_f32_e32 v42, v30, v191
	v_add_f32_e32 v11, v11, v15
	v_mul_f32_e32 v53, v65, v219
	v_fma_f32 v37, v38, v135, -v10
	v_mul_f32_e32 v10, v29, v187
	v_fma_f32 v21, v70, v215, -v21
	v_add_f32_e32 v11, v11, v9
	v_fmac_f32_e32 v53, v64, v218
	v_mul_f32_e32 v56, v67, v223
	v_fma_f32 v39, v28, v188, -v10
	v_mul_f32_e32 v10, v31, v191
	v_mul_f32_e32 v31, v33, v196
	v_add_f32_e32 v11, v11, v5
	v_fmac_f32_e32 v56, v66, v222
	v_mul_f32_e32 v55, v27, v225
	v_fma_f32 v30, v30, v192, -v10
	v_mul_f32_e32 v10, v33, v195
	v_fmac_f32_e32 v31, v32, v195
	v_mul_f32_e32 v33, v35, v217
	v_add_f32_e32 v11, v11, v7
	v_fmac_f32_e32 v36, v38, v134
	v_fma_f32 v32, v32, v196, -v10
	v_mul_f32_e32 v10, v35, v216
	v_fmac_f32_e32 v33, v34, v216
	v_add_f32_e32 v11, v11, v13
	v_mul_f32_e32 v35, v25, v221
	v_mul_f32_e32 v38, v29, v188
	v_fma_f32 v34, v34, v217, -v10
	v_mul_f32_e32 v10, v25, v220
	v_add_f32_e32 v11, v11, v17
	v_add_f32_e32 v25, v60, v57
	v_fmac_f32_e32 v35, v24, v220
	v_fmac_f32_e32 v55, v26, v224
	v_fma_f32 v49, v24, v221, -v10
	v_mul_f32_e32 v10, v27, v224
	v_add_f32_e32 v11, v11, v21
	v_add_f32_e32 v24, v118, v56
	v_sub_f32_e32 v27, v60, v57
	v_mul_f32_e32 v60, 0x3f116cb1, v25
	v_fma_f32 v51, v26, v225, -v10
	v_add_f32_e32 v10, v0, v118
	v_add_f32_e32 v11, v11, v54
	v_sub_f32_e32 v26, v118, v56
	v_mul_f32_e32 v64, 0x3df6dbef, v25
	v_mul_f32_e32 v68, 0xbeb58ec6, v25
	v_add_f32_e32 v10, v10, v22
	v_mul_f32_e32 v100, 0xbf3f9e67, v25
	v_fmac_f32_e32 v38, v28, v187
	v_add_f32_e32 v11, v11, v57
	v_mul_f32_e32 v28, 0xbeedf032, v27
	v_add_f32_e32 v10, v10, v18
	v_mul_f32_e32 v58, 0xbf52af12, v27
	v_fmamk_f32 v61, v26, 0x3f52af12, v60
	v_fmac_f32_e32 v60, 0xbf52af12, v26
	v_mul_f32_e32 v62, 0xbf7e222b, v27
	v_add_f32_e32 v10, v10, v14
	v_fmamk_f32 v65, v26, 0x3f7e222b, v64
	v_fmac_f32_e32 v64, 0xbf7e222b, v26
	v_mul_f32_e32 v66, 0xbf6f5d39, v27
	v_fmamk_f32 v69, v26, 0x3f6f5d39, v68
	v_add_f32_e32 v10, v10, v8
	v_fmac_f32_e32 v68, 0xbf6f5d39, v26
	v_mul_f32_e32 v70, 0xbf29c268, v27
	v_fmamk_f32 v101, v26, 0x3f29c268, v100
	v_fmac_f32_e32 v100, 0xbf29c268, v26
	v_add_f32_e32 v10, v10, v4
	v_mul_f32_e32 v27, 0xbe750f2a, v27
	v_fmamk_f32 v29, v24, 0x3f62ad3f, v28
	v_fma_f32 v28, 0x3f62ad3f, v24, -v28
	v_fmamk_f32 v59, v24, 0x3f116cb1, v58
	v_add_f32_e32 v10, v10, v6
	v_add_f32_e32 v61, v1, v61
	v_fma_f32 v58, 0x3f116cb1, v24, -v58
	v_add_f32_e32 v60, v1, v60
	v_fmamk_f32 v63, v24, 0x3df6dbef, v62
	v_add_f32_e32 v10, v10, v12
	v_add_f32_e32 v65, v1, v65
	v_fma_f32 v62, 0x3df6dbef, v24, -v62
	v_add_f32_e32 v64, v1, v64
	;; [unrolled: 5-line block ×4, first 2 shown]
	v_fmamk_f32 v102, v24, 0xbf788fa5, v27
	v_add_f32_e32 v10, v10, v53
	v_fma_f32 v24, 0xbf788fa5, v24, -v27
	v_add_f32_e32 v29, v0, v29
	v_add_f32_e32 v28, v0, v28
	;; [unrolled: 1-line block ×4, first 2 shown]
	v_mul_f32_e32 v56, 0x3f62ad3f, v25
	v_mul_f32_e32 v25, 0xbf788fa5, v25
	v_add_f32_e32 v58, v0, v58
	v_add_f32_e32 v63, v0, v63
	;; [unrolled: 1-line block ×3, first 2 shown]
	v_fmamk_f32 v57, v26, 0x3eedf032, v56
	v_fmac_f32_e32 v56, 0xbeedf032, v26
	v_fmamk_f32 v103, v26, 0x3e750f2a, v25
	v_fmac_f32_e32 v25, 0xbe750f2a, v26
	v_add_f32_e32 v67, v0, v67
	v_add_f32_e32 v57, v1, v57
	;; [unrolled: 1-line block ×6, first 2 shown]
	v_sub_f32_e32 v23, v23, v54
	v_add_f32_e32 v66, v0, v66
	v_add_f32_e32 v71, v0, v71
	;; [unrolled: 1-line block ×6, first 2 shown]
	v_mul_f32_e32 v26, 0xbf52af12, v23
	v_sub_f32_e32 v22, v22, v53
	v_fmamk_f32 v27, v24, 0x3f116cb1, v26
	v_fma_f32 v26, 0x3f116cb1, v24, -v26
	v_add_f32_e32 v27, v27, v29
	v_mul_f32_e32 v29, 0x3f116cb1, v25
	v_add_f32_e32 v26, v26, v28
	v_fmamk_f32 v53, v22, 0x3f52af12, v29
	v_fmac_f32_e32 v29, 0xbf52af12, v22
	v_add_f32_e32 v53, v53, v57
	v_add_f32_e32 v28, v29, v56
	v_mul_f32_e32 v29, 0xbf6f5d39, v23
	v_mul_f32_e32 v56, 0xbeb58ec6, v25
	v_fmamk_f32 v54, v24, 0xbeb58ec6, v29
	v_fma_f32 v29, 0xbeb58ec6, v24, -v29
	v_fmamk_f32 v57, v22, 0x3f6f5d39, v56
	v_fmac_f32_e32 v56, 0xbf6f5d39, v22
	v_add_f32_e32 v54, v54, v59
	v_add_f32_e32 v29, v29, v58
	v_mul_f32_e32 v58, 0xbe750f2a, v23
	v_add_f32_e32 v56, v56, v60
	v_mul_f32_e32 v60, 0xbf788fa5, v25
	v_add_f32_e32 v57, v57, v61
	v_fmamk_f32 v59, v24, 0xbf788fa5, v58
	v_fma_f32 v58, 0xbf788fa5, v24, -v58
	v_fmamk_f32 v61, v22, 0x3e750f2a, v60
	v_fmac_f32_e32 v60, 0xbe750f2a, v22
	v_add_f32_e32 v59, v59, v63
	v_add_f32_e32 v58, v58, v62
	v_mul_f32_e32 v62, 0x3f29c268, v23
	v_add_f32_e32 v60, v60, v64
	v_mul_f32_e32 v64, 0xbf3f9e67, v25
	v_add_f32_e32 v61, v61, v65
	v_fmamk_f32 v63, v24, 0xbf3f9e67, v62
	v_fma_f32 v62, 0xbf3f9e67, v24, -v62
	v_fmamk_f32 v65, v22, 0xbf29c268, v64
	v_fmac_f32_e32 v64, 0x3f29c268, v22
	v_add_f32_e32 v63, v63, v67
	v_add_f32_e32 v62, v62, v66
	v_mul_f32_e32 v66, 0x3f7e222b, v23
	v_mul_f32_e32 v23, 0x3eedf032, v23
	v_add_f32_e32 v64, v64, v68
	v_mul_f32_e32 v68, 0x3df6dbef, v25
	v_mul_f32_e32 v25, 0x3f62ad3f, v25
	v_fmamk_f32 v67, v24, 0x3df6dbef, v66
	v_fma_f32 v66, 0x3df6dbef, v24, -v66
	v_add_f32_e32 v65, v65, v69
	v_fmamk_f32 v69, v22, 0xbf7e222b, v68
	v_fmac_f32_e32 v68, 0x3f7e222b, v22
	v_add_f32_e32 v67, v67, v71
	v_add_f32_e32 v66, v66, v70
	v_fmamk_f32 v70, v24, 0x3f62ad3f, v23
	v_fma_f32 v23, 0x3f62ad3f, v24, -v23
	v_fmamk_f32 v71, v22, 0xbeedf032, v25
	v_fmac_f32_e32 v25, 0x3eedf032, v22
	v_add_f32_e32 v22, v18, v20
	v_sub_f32_e32 v18, v18, v20
	v_add_f32_e32 v0, v23, v0
	v_add_f32_e32 v23, v19, v21
	v_sub_f32_e32 v19, v19, v21
	v_add_f32_e32 v1, v25, v1
	v_add_f32_e32 v70, v70, v102
	;; [unrolled: 1-line block ×3, first 2 shown]
	v_mul_f32_e32 v24, 0x3df6dbef, v23
	v_mul_f32_e32 v20, 0xbf7e222b, v19
	v_add_f32_e32 v68, v68, v100
	v_add_f32_e32 v71, v71, v103
	v_fmamk_f32 v25, v18, 0x3f7e222b, v24
	v_fmamk_f32 v21, v22, 0x3df6dbef, v20
	v_fma_f32 v20, 0x3df6dbef, v22, -v20
	v_fmac_f32_e32 v24, 0xbf7e222b, v18
	v_add_f32_e32 v25, v25, v53
	v_add_f32_e32 v21, v21, v27
	;; [unrolled: 1-line block ×3, first 2 shown]
	v_mul_f32_e32 v26, 0xbe750f2a, v19
	v_add_f32_e32 v24, v24, v28
	v_mul_f32_e32 v28, 0xbf788fa5, v23
	v_fmamk_f32 v27, v22, 0xbf788fa5, v26
	v_fma_f32 v26, 0xbf788fa5, v22, -v26
	v_fmamk_f32 v53, v18, 0x3e750f2a, v28
	v_fmac_f32_e32 v28, 0xbe750f2a, v18
	v_add_f32_e32 v27, v27, v54
	v_add_f32_e32 v26, v26, v29
	v_mul_f32_e32 v29, 0x3f6f5d39, v19
	v_add_f32_e32 v28, v28, v56
	v_mul_f32_e32 v56, 0xbeb58ec6, v23
	v_add_f32_e32 v53, v53, v57
	v_fmamk_f32 v54, v22, 0xbeb58ec6, v29
	v_fma_f32 v29, 0xbeb58ec6, v22, -v29
	v_fmamk_f32 v57, v18, 0xbf6f5d39, v56
	v_fmac_f32_e32 v56, 0x3f6f5d39, v18
	v_add_f32_e32 v54, v54, v59
	v_add_f32_e32 v29, v29, v58
	v_mul_f32_e32 v58, 0x3eedf032, v19
	v_add_f32_e32 v56, v56, v60
	v_mul_f32_e32 v60, 0x3f62ad3f, v23
	v_add_f32_e32 v57, v57, v61
	v_fmamk_f32 v59, v22, 0x3f62ad3f, v58
	v_fma_f32 v58, 0x3f62ad3f, v22, -v58
	v_fmamk_f32 v61, v18, 0xbeedf032, v60
	v_fmac_f32_e32 v60, 0x3eedf032, v18
	v_add_f32_e32 v59, v59, v63
	v_add_f32_e32 v58, v58, v62
	v_mul_f32_e32 v62, 0xbf52af12, v19
	v_mul_f32_e32 v19, 0xbf29c268, v19
	v_add_f32_e32 v60, v60, v64
	v_mul_f32_e32 v64, 0x3f116cb1, v23
	v_mul_f32_e32 v23, 0xbf3f9e67, v23
	v_fmamk_f32 v63, v22, 0x3f116cb1, v62
	v_fma_f32 v62, 0x3f116cb1, v22, -v62
	v_add_f32_e32 v61, v61, v65
	v_fmamk_f32 v65, v18, 0x3f52af12, v64
	v_fmac_f32_e32 v64, 0xbf52af12, v18
	v_add_f32_e32 v63, v63, v67
	v_add_f32_e32 v62, v62, v66
	v_fmamk_f32 v66, v22, 0xbf3f9e67, v19
	v_fma_f32 v19, 0xbf3f9e67, v22, -v19
	v_fmamk_f32 v67, v18, 0x3f29c268, v23
	v_fmac_f32_e32 v23, 0xbf29c268, v18
	v_add_f32_e32 v18, v14, v16
	v_sub_f32_e32 v14, v14, v16
	v_add_f32_e32 v0, v19, v0
	v_add_f32_e32 v19, v15, v17
	v_sub_f32_e32 v15, v15, v17
	v_add_f32_e32 v1, v23, v1
	v_add_f32_e32 v66, v66, v70
	;; [unrolled: 1-line block ×4, first 2 shown]
	v_mul_f32_e32 v16, 0xbf6f5d39, v15
	v_add_f32_e32 v67, v67, v71
	v_fmamk_f32 v17, v18, 0xbeb58ec6, v16
	v_fma_f32 v16, 0xbeb58ec6, v18, -v16
	v_add_f32_e32 v17, v17, v21
	v_mul_f32_e32 v21, 0xbeb58ec6, v19
	v_add_f32_e32 v16, v16, v20
	v_fmamk_f32 v22, v14, 0x3f6f5d39, v21
	v_fmac_f32_e32 v21, 0xbf6f5d39, v14
	v_add_f32_e32 v22, v22, v25
	v_add_f32_e32 v20, v21, v24
	v_mul_f32_e32 v21, 0x3f29c268, v15
	v_mul_f32_e32 v24, 0xbf3f9e67, v19
	v_fmamk_f32 v23, v18, 0xbf3f9e67, v21
	v_fma_f32 v21, 0xbf3f9e67, v18, -v21
	v_fmamk_f32 v25, v14, 0xbf29c268, v24
	v_fmac_f32_e32 v24, 0x3f29c268, v14
	v_add_f32_e32 v23, v23, v27
	v_add_f32_e32 v21, v21, v26
	v_mul_f32_e32 v26, 0x3eedf032, v15
	v_add_f32_e32 v24, v24, v28
	v_mul_f32_e32 v28, 0x3f62ad3f, v19
	v_add_f32_e32 v25, v25, v53
	v_fmamk_f32 v27, v18, 0x3f62ad3f, v26
	v_fma_f32 v26, 0x3f62ad3f, v18, -v26
	v_fmamk_f32 v53, v14, 0xbeedf032, v28
	v_fmac_f32_e32 v28, 0x3eedf032, v14
	v_add_f32_e32 v27, v27, v54
	v_add_f32_e32 v26, v26, v29
	v_mul_f32_e32 v29, 0xbf7e222b, v15
	v_add_f32_e32 v28, v28, v56
	v_mul_f32_e32 v56, 0x3df6dbef, v19
	v_add_f32_e32 v53, v53, v57
	v_fmamk_f32 v54, v18, 0x3df6dbef, v29
	v_fma_f32 v29, 0x3df6dbef, v18, -v29
	v_fmamk_f32 v57, v14, 0x3f7e222b, v56
	v_fmac_f32_e32 v56, 0xbf7e222b, v14
	v_add_f32_e32 v54, v54, v59
	v_add_f32_e32 v29, v29, v58
	v_mul_f32_e32 v58, 0x3e750f2a, v15
	v_mul_f32_e32 v15, 0x3f52af12, v15
	v_add_f32_e32 v56, v56, v60
	v_mul_f32_e32 v60, 0xbf788fa5, v19
	v_mul_f32_e32 v19, 0x3f116cb1, v19
	v_fmamk_f32 v59, v18, 0xbf788fa5, v58
	v_fma_f32 v58, 0xbf788fa5, v18, -v58
	v_add_f32_e32 v57, v57, v61
	v_fmamk_f32 v61, v14, 0xbe750f2a, v60
	v_fmac_f32_e32 v60, 0x3e750f2a, v14
	v_add_f32_e32 v59, v59, v63
	v_add_f32_e32 v58, v58, v62
	v_fmamk_f32 v62, v18, 0x3f116cb1, v15
	v_fma_f32 v15, 0x3f116cb1, v18, -v15
	v_fmamk_f32 v63, v14, 0xbf52af12, v19
	v_fmac_f32_e32 v19, 0x3f52af12, v14
	v_add_f32_e32 v14, v8, v12
	v_sub_f32_e32 v8, v8, v12
	v_add_f32_e32 v0, v15, v0
	v_add_f32_e32 v15, v9, v13
	v_sub_f32_e32 v9, v9, v13
	v_add_f32_e32 v1, v19, v1
	v_add_f32_e32 v62, v62, v66
	;; [unrolled: 1-line block ×4, first 2 shown]
	v_mul_f32_e32 v12, 0xbf29c268, v9
	v_sub_f32_e32 v64, v5, v7
	v_add_f32_e32 v63, v63, v67
	v_fmamk_f32 v13, v14, 0xbf3f9e67, v12
	v_fma_f32 v12, 0xbf3f9e67, v14, -v12
	v_add_f32_e32 v13, v13, v17
	v_mul_f32_e32 v17, 0xbf3f9e67, v15
	v_add_f32_e32 v16, v12, v16
	v_mul_f32_e32 v12, 0x3f7e222b, v9
	v_fmamk_f32 v18, v8, 0x3f29c268, v17
	v_fmac_f32_e32 v17, 0xbf29c268, v8
	v_fmamk_f32 v19, v14, 0x3df6dbef, v12
	v_fma_f32 v12, 0x3df6dbef, v14, -v12
	v_add_f32_e32 v18, v18, v22
	v_add_f32_e32 v17, v17, v20
	v_mul_f32_e32 v20, 0x3df6dbef, v15
	v_add_f32_e32 v21, v12, v21
	v_mul_f32_e32 v12, 0xbf52af12, v9
	v_add_f32_e32 v19, v19, v23
	v_fmamk_f32 v22, v8, 0xbf7e222b, v20
	v_fmac_f32_e32 v20, 0x3f7e222b, v8
	v_fmamk_f32 v23, v14, 0x3f116cb1, v12
	v_fma_f32 v12, 0x3f116cb1, v14, -v12
	v_add_f32_e32 v22, v22, v25
	v_add_f32_e32 v20, v20, v24
	v_mul_f32_e32 v24, 0x3f116cb1, v15
	v_add_f32_e32 v26, v12, v26
	v_mul_f32_e32 v12, 0x3e750f2a, v9
	v_add_f32_e32 v23, v23, v27
	;; [unrolled: 10-line block ×3, first 2 shown]
	v_mul_f32_e32 v9, 0xbf6f5d39, v9
	v_fmamk_f32 v53, v8, 0xbe750f2a, v28
	v_fmac_f32_e32 v28, 0x3e750f2a, v8
	v_fmamk_f32 v54, v14, 0x3f62ad3f, v12
	v_fma_f32 v12, 0x3f62ad3f, v14, -v12
	v_add_f32_e32 v53, v53, v57
	v_add_f32_e32 v28, v28, v56
	v_mul_f32_e32 v56, 0x3f62ad3f, v15
	v_add_f32_e32 v58, v12, v58
	v_fmamk_f32 v12, v14, 0xbeb58ec6, v9
	v_add_f32_e32 v54, v54, v59
	v_fma_f32 v9, 0xbeb58ec6, v14, -v9
	v_fmamk_f32 v57, v8, 0xbeedf032, v56
	v_fmac_f32_e32 v56, 0x3eedf032, v8
	v_add_f32_e32 v59, v12, v62
	v_mul_f32_e32 v12, 0xbeb58ec6, v15
	v_add_f32_e32 v9, v9, v0
	v_add_f32_e32 v57, v57, v61
	;; [unrolled: 1-line block ×3, first 2 shown]
	v_mul_f32_e32 v0, 0xbe750f2a, v64
	v_fmamk_f32 v15, v8, 0x3f6f5d39, v12
	v_fmac_f32_e32 v12, 0xbf6f5d39, v8
	v_add_f32_e32 v62, v5, v7
	v_add_f32_e32 v56, v56, v60
	;; [unrolled: 1-line block ×4, first 2 shown]
	v_fmamk_f32 v1, v61, 0xbf788fa5, v0
	v_sub_f32_e32 v63, v4, v6
	v_fma_f32 v0, 0xbf788fa5, v61, -v0
	v_add_f32_e32 v12, v1, v13
	v_mul_f32_e32 v1, 0xbf788fa5, v62
	v_add_f32_e32 v0, v0, v16
	v_fmamk_f32 v4, v63, 0x3e750f2a, v1
	v_fmac_f32_e32 v1, 0xbe750f2a, v63
	v_add_f32_e32 v13, v4, v18
	v_mul_f32_e32 v4, 0x3eedf032, v64
	v_add_f32_e32 v1, v1, v17
	v_fmamk_f32 v5, v61, 0x3f62ad3f, v4
	v_fma_f32 v4, 0x3f62ad3f, v61, -v4
	v_add_f32_e32 v14, v5, v19
	v_mul_f32_e32 v5, 0x3f62ad3f, v62
	v_add_f32_e32 v4, v4, v21
	v_mul_f32_e32 v21, 0x3f116cb1, v62
	v_fmamk_f32 v6, v63, 0xbeedf032, v5
	v_fmac_f32_e32 v5, 0x3eedf032, v63
	v_fmamk_f32 v19, v63, 0xbf52af12, v21
	v_fmac_f32_e32 v21, 0x3f52af12, v63
	v_add_f32_e32 v15, v6, v22
	v_add_f32_e32 v5, v5, v20
	v_mul_f32_e32 v6, 0xbf29c268, v64
	v_mul_f32_e32 v20, 0x3f52af12, v64
	v_add_f32_e32 v21, v21, v28
	v_mul_f32_e32 v28, 0x3f7e222b, v64
	v_add_f32_e32 v19, v19, v53
	v_fmamk_f32 v7, v61, 0xbf3f9e67, v6
	v_fma_f32 v6, 0xbf3f9e67, v61, -v6
	v_fmamk_f32 v18, v61, 0x3f116cb1, v20
	v_fma_f32 v20, 0x3f116cb1, v61, -v20
	v_add_f32_e32 v53, v52, v55
	v_add_f32_e32 v16, v7, v23
	;; [unrolled: 1-line block ×3, first 2 shown]
	v_fmamk_f32 v26, v61, 0x3df6dbef, v28
	v_add_f32_e32 v20, v20, v29
	v_mul_f32_e32 v29, 0x3df6dbef, v62
	v_fma_f32 v28, 0x3df6dbef, v61, -v28
	v_add_f32_e32 v18, v18, v27
	v_mul_f32_e32 v7, 0xbf3f9e67, v62
	v_add_f32_e32 v26, v26, v59
	v_fmamk_f32 v27, v63, 0xbf7e222b, v29
	v_add_f32_e32 v28, v28, v9
	v_fmac_f32_e32 v29, 0x3f7e222b, v63
	v_add_f32_e32 v9, v3, v50
	v_fmamk_f32 v17, v63, 0x3f29c268, v7
	v_fmac_f32_e32 v7, 0xbf29c268, v63
	v_add_f32_e32 v27, v27, v60
	v_add_f32_e32 v29, v29, v8
	;; [unrolled: 1-line block ×5, first 2 shown]
	v_mul_f32_e32 v24, 0xbf6f5d39, v64
	v_add_f32_e32 v17, v17, v25
	v_add_f32_e32 v8, v8, v48
	;; [unrolled: 1-line block ×3, first 2 shown]
	v_mul_f32_e32 v25, 0xbeb58ec6, v62
	v_fmamk_f32 v22, v61, 0xbeb58ec6, v24
	v_fma_f32 v24, 0xbeb58ec6, v61, -v24
	v_add_f32_e32 v8, v8, v45
	v_add_f32_e32 v9, v9, v43
	v_fmamk_f32 v23, v63, 0x3f6f5d39, v25
	v_add_f32_e32 v22, v22, v54
	v_fmac_f32_e32 v25, 0xbf6f5d39, v63
	v_add_f32_e32 v8, v8, v44
	v_add_f32_e32 v9, v9, v41
	;; [unrolled: 1-line block ×3, first 2 shown]
	v_sub_f32_e32 v50, v50, v51
	v_add_f32_e32 v24, v24, v58
	v_add_f32_e32 v8, v8, v40
	;; [unrolled: 1-line block ×4, first 2 shown]
	v_sub_f32_e32 v52, v52, v55
	v_mul_f32_e32 v56, 0x3f62ad3f, v54
	v_add_f32_e32 v8, v8, v36
	v_add_f32_e32 v9, v9, v39
	v_mul_f32_e32 v58, 0xbf52af12, v50
	v_mul_f32_e32 v60, 0x3f116cb1, v54
	v_mul_f32_e32 v62, 0xbf7e222b, v50
	v_add_f32_e32 v8, v8, v38
	v_add_f32_e32 v9, v9, v30
	v_mul_f32_e32 v64, 0x3df6dbef, v54
	v_mul_f32_e32 v66, 0xbf6f5d39, v50
	;; [unrolled: 5-line block ×3, first 2 shown]
	v_mul_f32_e32 v54, 0xbf788fa5, v54
	v_add_f32_e32 v8, v8, v31
	v_add_f32_e32 v9, v9, v34
	;; [unrolled: 1-line block ×3, first 2 shown]
	v_fmamk_f32 v57, v52, 0x3eedf032, v56
	v_fmac_f32_e32 v56, 0xbeedf032, v52
	v_add_f32_e32 v8, v8, v33
	v_add_f32_e32 v9, v9, v49
	v_fmamk_f32 v59, v53, 0x3f116cb1, v58
	v_fmamk_f32 v61, v52, 0x3f52af12, v60
	v_fma_f32 v58, 0x3f116cb1, v53, -v58
	v_add_f32_e32 v8, v8, v35
	v_add_f32_e32 v9, v9, v51
	v_mul_f32_e32 v51, 0xbeedf032, v50
	v_mul_f32_e32 v50, 0xbe750f2a, v50
	v_fmac_f32_e32 v60, 0xbf52af12, v52
	v_add_f32_e32 v8, v8, v55
	v_fmamk_f32 v63, v53, 0x3df6dbef, v62
	v_fmamk_f32 v55, v53, 0x3f62ad3f, v51
	v_fma_f32 v51, 0x3f62ad3f, v53, -v51
	v_fmamk_f32 v65, v52, 0x3f7e222b, v64
	v_fma_f32 v62, 0x3df6dbef, v53, -v62
	v_fmac_f32_e32 v64, 0xbf7e222b, v52
	v_fmamk_f32 v67, v53, 0xbeb58ec6, v66
	v_fmamk_f32 v69, v52, 0x3f6f5d39, v68
	v_fma_f32 v66, 0xbeb58ec6, v53, -v66
	v_fmac_f32_e32 v68, 0xbf6f5d39, v52
	v_fmamk_f32 v71, v53, 0xbf3f9e67, v70
	v_fmamk_f32 v101, v52, 0x3f29c268, v100
	v_fma_f32 v70, 0xbf3f9e67, v53, -v70
	v_fmac_f32_e32 v100, 0xbf29c268, v52
	v_fmamk_f32 v102, v53, 0xbf788fa5, v50
	v_fmamk_f32 v103, v52, 0x3e750f2a, v54
	v_fma_f32 v50, 0xbf788fa5, v53, -v50
	v_fmac_f32_e32 v54, 0xbe750f2a, v52
	v_add_f32_e32 v52, v47, v49
	v_sub_f32_e32 v47, v47, v49
	v_add_f32_e32 v55, v2, v55
	v_add_f32_e32 v51, v2, v51
	;; [unrolled: 1-line block ×13, first 2 shown]
	v_sub_f32_e32 v35, v48, v35
	v_mul_f32_e32 v48, 0xbf52af12, v47
	v_mul_f32_e32 v53, 0x3f116cb1, v52
	v_add_f32_e32 v57, v3, v57
	v_add_f32_e32 v56, v3, v56
	;; [unrolled: 1-line block ×12, first 2 shown]
	v_fmamk_f32 v49, v50, 0x3f116cb1, v48
	v_fmamk_f32 v54, v35, 0x3f52af12, v53
	v_fma_f32 v48, 0x3f116cb1, v50, -v48
	v_fmac_f32_e32 v53, 0xbf52af12, v35
	ds_write2_b64 v202, v[10:11], v[12:13] offset1:26
	ds_write2_b64 v202, v[14:15], v[16:17] offset0:52 offset1:78
	ds_write2_b64 v202, v[18:19], v[22:23] offset0:104 offset1:130
	;; [unrolled: 1-line block ×4, first 2 shown]
	v_add_f32_e32 v49, v49, v55
	v_add_f32_e32 v54, v54, v57
	;; [unrolled: 1-line block ×4, first 2 shown]
	v_mul_f32_e32 v53, 0xbf6f5d39, v47
	v_mul_f32_e32 v56, 0xbeb58ec6, v52
	v_add_nc_u32_e32 v10, 0x800, v202
	v_fmamk_f32 v55, v50, 0xbeb58ec6, v53
	v_fma_f32 v53, 0xbeb58ec6, v50, -v53
	v_fmamk_f32 v57, v35, 0x3f6f5d39, v56
	v_fmac_f32_e32 v56, 0xbf6f5d39, v35
	v_add_f32_e32 v55, v55, v59
	v_add_f32_e32 v53, v53, v58
	v_mul_f32_e32 v58, 0xbe750f2a, v47
	v_add_f32_e32 v56, v56, v60
	v_mul_f32_e32 v60, 0xbf788fa5, v52
	v_add_f32_e32 v57, v57, v61
	v_fmamk_f32 v59, v50, 0xbf788fa5, v58
	v_fma_f32 v58, 0xbf788fa5, v50, -v58
	v_fmamk_f32 v61, v35, 0x3e750f2a, v60
	v_fmac_f32_e32 v60, 0xbe750f2a, v35
	v_add_f32_e32 v59, v59, v63
	v_add_f32_e32 v58, v58, v62
	v_mul_f32_e32 v62, 0x3f29c268, v47
	v_add_f32_e32 v60, v60, v64
	v_mul_f32_e32 v64, 0xbf3f9e67, v52
	v_add_f32_e32 v61, v61, v65
	v_fmamk_f32 v63, v50, 0xbf3f9e67, v62
	v_fma_f32 v62, 0xbf3f9e67, v50, -v62
	v_fmamk_f32 v65, v35, 0xbf29c268, v64
	v_fmac_f32_e32 v64, 0x3f29c268, v35
	v_add_f32_e32 v63, v63, v67
	v_add_f32_e32 v62, v62, v66
	v_mul_f32_e32 v66, 0x3f7e222b, v47
	v_mul_f32_e32 v47, 0x3eedf032, v47
	v_add_f32_e32 v64, v64, v68
	v_mul_f32_e32 v68, 0x3df6dbef, v52
	v_mul_f32_e32 v52, 0x3f62ad3f, v52
	v_fmamk_f32 v67, v50, 0x3df6dbef, v66
	v_fma_f32 v66, 0x3df6dbef, v50, -v66
	v_add_f32_e32 v65, v65, v69
	v_fmamk_f32 v69, v35, 0xbf7e222b, v68
	v_fmac_f32_e32 v68, 0x3f7e222b, v35
	v_add_f32_e32 v67, v67, v71
	v_add_f32_e32 v66, v66, v70
	v_fmamk_f32 v70, v50, 0x3f62ad3f, v47
	v_fma_f32 v47, 0x3f62ad3f, v50, -v47
	v_fmamk_f32 v71, v35, 0xbeedf032, v52
	v_fmac_f32_e32 v52, 0x3eedf032, v35
	v_add_f32_e32 v35, v45, v33
	v_sub_f32_e32 v33, v45, v33
	v_add_f32_e32 v2, v47, v2
	v_add_f32_e32 v47, v46, v34
	v_sub_f32_e32 v34, v46, v34
	v_add_f32_e32 v3, v52, v3
	v_add_f32_e32 v70, v70, v102
	;; [unrolled: 1-line block ×3, first 2 shown]
	v_mul_f32_e32 v52, 0xbf788fa5, v47
	v_mul_f32_e32 v45, 0xbf7e222b, v34
	v_add_f32_e32 v68, v68, v100
	v_add_f32_e32 v71, v71, v103
	v_fmamk_f32 v46, v35, 0x3df6dbef, v45
	v_fma_f32 v45, 0x3df6dbef, v35, -v45
	v_add_f32_e32 v46, v46, v49
	v_mul_f32_e32 v49, 0x3df6dbef, v47
	v_add_f32_e32 v45, v45, v48
	v_fmamk_f32 v50, v33, 0x3f7e222b, v49
	v_fmac_f32_e32 v49, 0xbf7e222b, v33
	v_add_f32_e32 v50, v50, v54
	v_add_f32_e32 v48, v49, v51
	v_mul_f32_e32 v49, 0xbe750f2a, v34
	v_fmamk_f32 v54, v33, 0x3e750f2a, v52
	v_fmac_f32_e32 v52, 0xbe750f2a, v33
	v_fmamk_f32 v51, v35, 0xbf788fa5, v49
	v_fma_f32 v49, 0xbf788fa5, v35, -v49
	v_add_f32_e32 v52, v52, v56
	v_mul_f32_e32 v56, 0xbeb58ec6, v47
	v_add_f32_e32 v54, v54, v57
	v_add_f32_e32 v51, v51, v55
	;; [unrolled: 1-line block ×3, first 2 shown]
	v_mul_f32_e32 v53, 0x3f6f5d39, v34
	v_fmamk_f32 v57, v33, 0xbf6f5d39, v56
	v_fmac_f32_e32 v56, 0x3f6f5d39, v33
	v_fmamk_f32 v55, v35, 0xbeb58ec6, v53
	v_fma_f32 v53, 0xbeb58ec6, v35, -v53
	v_add_f32_e32 v56, v56, v60
	v_mul_f32_e32 v60, 0x3f62ad3f, v47
	v_add_f32_e32 v57, v57, v61
	v_add_f32_e32 v55, v55, v59
	;; [unrolled: 1-line block ×3, first 2 shown]
	v_mul_f32_e32 v58, 0x3eedf032, v34
	v_fmamk_f32 v61, v33, 0xbeedf032, v60
	v_fmac_f32_e32 v60, 0x3eedf032, v33
	v_fmamk_f32 v59, v35, 0x3f62ad3f, v58
	v_fma_f32 v58, 0x3f62ad3f, v35, -v58
	v_add_f32_e32 v60, v60, v64
	v_mul_f32_e32 v64, 0x3f116cb1, v47
	v_mul_f32_e32 v47, 0xbf3f9e67, v47
	v_add_f32_e32 v59, v59, v63
	v_add_f32_e32 v58, v58, v62
	v_mul_f32_e32 v62, 0xbf52af12, v34
	v_mul_f32_e32 v34, 0xbf29c268, v34
	v_add_f32_e32 v61, v61, v65
	v_fmamk_f32 v65, v33, 0x3f52af12, v64
	v_fmac_f32_e32 v64, 0xbf52af12, v33
	v_fmamk_f32 v63, v35, 0x3f116cb1, v62
	v_fma_f32 v62, 0x3f116cb1, v35, -v62
	v_add_f32_e32 v65, v65, v69
	v_add_f32_e32 v64, v64, v68
	;; [unrolled: 1-line block ×4, first 2 shown]
	v_fmamk_f32 v66, v35, 0xbf3f9e67, v34
	v_fma_f32 v34, 0xbf3f9e67, v35, -v34
	v_fmamk_f32 v67, v33, 0x3f29c268, v47
	v_fmac_f32_e32 v47, 0xbf29c268, v33
	v_add_f32_e32 v33, v44, v31
	v_sub_f32_e32 v31, v44, v31
	v_add_f32_e32 v2, v34, v2
	v_add_f32_e32 v34, v43, v32
	v_sub_f32_e32 v32, v43, v32
	v_add_f32_e32 v3, v47, v3
	v_add_f32_e32 v66, v66, v70
	v_sub_f32_e32 v69, v37, v39
	v_mul_f32_e32 v44, 0xbeb58ec6, v34
	v_mul_f32_e32 v35, 0xbf6f5d39, v32
	v_add_f32_e32 v67, v67, v71
	v_sub_f32_e32 v68, v36, v38
	v_fmamk_f32 v43, v33, 0xbeb58ec6, v35
	v_fma_f32 v35, 0xbeb58ec6, v33, -v35
	v_add_f32_e32 v43, v43, v46
	v_add_f32_e32 v35, v35, v45
	v_mul_f32_e32 v45, 0x3f29c268, v32
	v_fmamk_f32 v46, v31, 0x3f6f5d39, v44
	v_fmac_f32_e32 v44, 0xbf6f5d39, v31
	v_fmamk_f32 v47, v33, 0xbf3f9e67, v45
	v_fma_f32 v45, 0xbf3f9e67, v33, -v45
	v_add_f32_e32 v44, v44, v48
	v_mul_f32_e32 v48, 0xbf3f9e67, v34
	v_add_f32_e32 v46, v46, v50
	v_add_f32_e32 v47, v47, v51
	v_add_f32_e32 v45, v45, v49
	v_mul_f32_e32 v49, 0x3eedf032, v32
	v_fmamk_f32 v50, v31, 0xbf29c268, v48
	v_fmac_f32_e32 v48, 0x3f29c268, v31
	v_fmamk_f32 v51, v33, 0x3f62ad3f, v49
	v_fma_f32 v49, 0x3f62ad3f, v33, -v49
	v_add_f32_e32 v48, v48, v52
	v_mul_f32_e32 v52, 0x3f62ad3f, v34
	v_add_f32_e32 v50, v50, v54
	;; [unrolled: 10-line block ×3, first 2 shown]
	v_add_f32_e32 v55, v55, v59
	v_add_f32_e32 v53, v53, v58
	v_mul_f32_e32 v58, 0x3e750f2a, v32
	v_fmamk_f32 v57, v31, 0x3f7e222b, v56
	v_fmac_f32_e32 v56, 0xbf7e222b, v31
	v_mul_f32_e32 v32, 0x3f52af12, v32
	v_fmamk_f32 v59, v33, 0xbf788fa5, v58
	v_fma_f32 v58, 0xbf788fa5, v33, -v58
	v_add_f32_e32 v56, v56, v60
	v_mul_f32_e32 v60, 0xbf788fa5, v34
	v_mul_f32_e32 v34, 0x3f116cb1, v34
	v_add_f32_e32 v59, v59, v63
	v_add_f32_e32 v58, v58, v62
	v_fmamk_f32 v62, v33, 0x3f116cb1, v32
	v_fma_f32 v32, 0x3f116cb1, v33, -v32
	v_fmamk_f32 v63, v31, 0xbf52af12, v34
	v_fmac_f32_e32 v34, 0x3f52af12, v31
	v_add_f32_e32 v57, v57, v61
	v_fmamk_f32 v61, v31, 0xbe750f2a, v60
	v_add_f32_e32 v2, v32, v2
	v_add_f32_e32 v32, v41, v30
	v_sub_f32_e32 v30, v41, v30
	v_fmac_f32_e32 v60, 0x3e750f2a, v31
	v_add_f32_e32 v3, v34, v3
	v_add_f32_e32 v31, v40, v42
	v_sub_f32_e32 v33, v40, v42
	v_mul_f32_e32 v34, 0xbf29c268, v30
	v_mul_f32_e32 v41, 0xbf3f9e67, v32
	v_add_f32_e32 v62, v62, v66
	v_add_f32_e32 v60, v60, v64
	;; [unrolled: 1-line block ×3, first 2 shown]
	v_fmamk_f32 v40, v31, 0xbf3f9e67, v34
	v_fmamk_f32 v42, v33, 0x3f29c268, v41
	v_fma_f32 v34, 0xbf3f9e67, v31, -v34
	v_fmac_f32_e32 v41, 0xbf29c268, v33
	v_add_f32_e32 v61, v61, v65
	v_add_f32_e32 v40, v40, v43
	;; [unrolled: 1-line block ×5, first 2 shown]
	v_mul_f32_e32 v44, 0x3df6dbef, v32
	v_mul_f32_e32 v41, 0x3f7e222b, v30
	v_add_f32_e32 v63, v63, v67
	v_add_f32_e32 v67, v37, v39
	v_mul_f32_e32 v38, 0x3f52af12, v69
	v_fmamk_f32 v46, v33, 0xbf7e222b, v44
	v_fmac_f32_e32 v44, 0x3f7e222b, v33
	v_fmamk_f32 v43, v31, 0x3df6dbef, v41
	v_fma_f32 v41, 0x3df6dbef, v31, -v41
	v_mul_f32_e32 v39, 0x3f116cb1, v67
	v_add_f32_e32 v46, v46, v50
	v_add_f32_e32 v44, v44, v48
	v_mul_f32_e32 v48, 0x3f116cb1, v32
	v_add_f32_e32 v41, v41, v45
	v_mul_f32_e32 v45, 0xbf52af12, v30
	v_add_f32_e32 v43, v43, v47
	v_fmamk_f32 v36, v66, 0x3f116cb1, v38
	v_fmamk_f32 v50, v33, 0x3f52af12, v48
	v_fmac_f32_e32 v48, 0xbf52af12, v33
	v_fmamk_f32 v47, v31, 0x3f116cb1, v45
	v_fma_f32 v45, 0x3f116cb1, v31, -v45
	v_fmamk_f32 v37, v68, 0xbf52af12, v39
	v_add_f32_e32 v54, v50, v54
	v_add_f32_e32 v52, v48, v52
	v_mul_f32_e32 v48, 0x3e750f2a, v30
	v_add_f32_e32 v45, v45, v49
	v_add_f32_e32 v47, v47, v51
	v_fma_f32 v38, 0x3f116cb1, v66, -v38
	v_fmac_f32_e32 v39, 0x3f52af12, v68
	v_fmamk_f32 v49, v31, 0xbf788fa5, v48
	v_fma_f32 v48, 0xbf788fa5, v31, -v48
	v_add_f32_e32 v55, v49, v55
	v_mul_f32_e32 v49, 0xbf788fa5, v32
	v_add_f32_e32 v53, v48, v53
	v_mul_f32_e32 v48, 0x3eedf032, v30
	v_mul_f32_e32 v30, 0xbf6f5d39, v30
	v_add_f32_e32 v36, v36, v55
	v_fmamk_f32 v50, v33, 0xbe750f2a, v49
	v_fmac_f32_e32 v49, 0x3e750f2a, v33
	v_add_f32_e32 v38, v38, v53
	v_add_f32_e32 v57, v50, v57
	;; [unrolled: 1-line block ×3, first 2 shown]
	v_fmamk_f32 v49, v31, 0x3f62ad3f, v48
	v_fma_f32 v48, 0x3f62ad3f, v31, -v48
	v_add_f32_e32 v37, v37, v57
	v_add_f32_e32 v39, v39, v56
	;; [unrolled: 1-line block ×3, first 2 shown]
	v_mul_f32_e32 v49, 0x3f62ad3f, v32
	v_add_f32_e32 v58, v48, v58
	v_fmamk_f32 v48, v31, 0xbeb58ec6, v30
	v_mul_f32_e32 v32, 0xbeb58ec6, v32
	v_fma_f32 v30, 0xbeb58ec6, v31, -v30
	v_fmamk_f32 v50, v33, 0xbeedf032, v49
	v_fmac_f32_e32 v49, 0x3eedf032, v33
	v_add_f32_e32 v62, v48, v62
	v_fmamk_f32 v48, v33, 0x3f6f5d39, v32
	v_add_f32_e32 v64, v30, v2
	v_fmac_f32_e32 v32, 0xbf6f5d39, v33
	v_mul_f32_e32 v2, 0xbe750f2a, v69
	v_add_f32_e32 v61, v50, v61
	v_add_f32_e32 v63, v48, v63
	;; [unrolled: 1-line block ×4, first 2 shown]
	v_fmamk_f32 v3, v66, 0xbf788fa5, v2
	v_fma_f32 v2, 0xbf788fa5, v66, -v2
	v_add_f32_e32 v30, v3, v40
	v_mul_f32_e32 v3, 0xbf788fa5, v67
	v_add_f32_e32 v50, v2, v34
	v_mul_f32_e32 v2, 0x3eedf032, v69
	v_fmamk_f32 v31, v68, 0x3e750f2a, v3
	v_fmac_f32_e32 v3, 0xbe750f2a, v68
	v_add_f32_e32 v31, v31, v42
	v_add_f32_e32 v51, v3, v35
	v_fmamk_f32 v3, v66, 0x3f62ad3f, v2
	v_fma_f32 v2, 0x3f62ad3f, v66, -v2
	v_mul_f32_e32 v42, 0xbf6f5d39, v69
	v_add_f32_e32 v32, v3, v43
	v_mul_f32_e32 v3, 0x3f62ad3f, v67
	v_add_f32_e32 v48, v2, v41
	v_mul_f32_e32 v2, 0xbf29c268, v69
	v_mul_f32_e32 v43, 0xbeb58ec6, v67
	v_fmamk_f32 v40, v66, 0xbeb58ec6, v42
	v_fmamk_f32 v33, v68, 0xbeedf032, v3
	v_fmac_f32_e32 v3, 0x3eedf032, v68
	v_fma_f32 v42, 0xbeb58ec6, v66, -v42
	v_fmamk_f32 v41, v68, 0x3f6f5d39, v43
	v_fmac_f32_e32 v43, 0xbf6f5d39, v68
	v_add_f32_e32 v33, v33, v46
	v_add_f32_e32 v49, v3, v44
	v_fmamk_f32 v3, v66, 0xbf3f9e67, v2
	v_fma_f32 v2, 0xbf3f9e67, v66, -v2
	v_mul_f32_e32 v46, 0x3f7e222b, v69
	v_add_f32_e32 v40, v40, v59
	v_add_f32_e32 v41, v41, v61
	;; [unrolled: 1-line block ×3, first 2 shown]
	v_mul_f32_e32 v3, 0xbf3f9e67, v67
	v_mul_f32_e32 v47, 0x3df6dbef, v67
	v_add_f32_e32 v2, v2, v45
	v_fmamk_f32 v44, v66, 0x3df6dbef, v46
	v_fma_f32 v46, 0x3df6dbef, v66, -v46
	v_fmamk_f32 v35, v68, 0x3f29c268, v3
	v_fmac_f32_e32 v3, 0xbf29c268, v68
	v_fmamk_f32 v45, v68, 0xbf7e222b, v47
	v_fmac_f32_e32 v47, 0x3f7e222b, v68
	v_add_f32_e32 v42, v42, v58
	v_add_f32_e32 v35, v35, v54
	;; [unrolled: 1-line block ×8, first 2 shown]
	ds_write2_b64 v10, v[6:7], v[4:5] offset0:4 offset1:30
	ds_write_b64 v202, v[0:1] offset:2496
	ds_write2_b64 v205, v[8:9], v[30:31] offset1:26
	ds_write2_b64 v205, v[32:33], v[34:35] offset0:52 offset1:78
	ds_write2_b64 v205, v[36:37], v[40:41] offset0:104 offset1:130
	;; [unrolled: 1-line block ×4, first 2 shown]
	v_add_nc_u32_e32 v0, 0x800, v205
	ds_write2_b64 v0, v[2:3], v[48:49] offset0:4 offset1:30
	ds_write_b64 v205, v[50:51] offset:2496
	v_add_nc_u32_e32 v0, 0x1c00, v199
	s_waitcnt lgkmcnt(0)
	s_barrier
	buffer_gl0_inv
	ds_read2_b64 v[8:11], v199 offset1:52
	ds_read2_b64 v[36:39], v207 offset0:82 offset1:134
	ds_read2_b64 v[40:43], v210 offset0:164 offset1:216
	;; [unrolled: 1-line block ×11, first 2 shown]
	s_and_saveexec_b32 s0, vcc_lo
	s_cbranch_execz .LBB0_7
; %bb.6:
	ds_read_b64 v[48:49], v199 offset:2496
	ds_read_b64 v[50:51], v199 offset:5200
	ds_read_b64 v[108:109], v199 offset:7904
	ds_read_b64 v[106:107], v199 offset:10608
.LBB0_7:
	s_or_b32 exec_lo, exec_lo, s0
	s_waitcnt lgkmcnt(10)
	v_mul_f32_e32 v52, v77, v37
	v_mul_f32_e32 v53, v77, v36
	s_waitcnt lgkmcnt(9)
	v_mul_f32_e32 v54, v79, v41
	v_mul_f32_e32 v55, v79, v40
	;; [unrolled: 1-line block ×3, first 2 shown]
	v_fmac_f32_e32 v52, v76, v36
	v_fma_f32 v36, v76, v37, -v53
	s_waitcnt lgkmcnt(8)
	v_mul_f32_e32 v37, v184, v45
	v_mul_f32_e32 v53, v184, v44
	v_fmac_f32_e32 v54, v78, v40
	v_fma_f32 v40, v78, v41, -v55
	v_fmac_f32_e32 v56, v72, v38
	v_fmac_f32_e32 v37, v183, v44
	v_fma_f32 v41, v183, v45, -v53
	v_mul_f32_e32 v38, v73, v38
	v_mul_f32_e32 v44, v75, v43
	;; [unrolled: 1-line block ×5, first 2 shown]
	v_fma_f32 v38, v72, v39, -v38
	v_fmac_f32_e32 v44, v74, v42
	v_fma_f32 v39, v74, v43, -v45
	v_fmac_f32_e32 v53, v181, v46
	v_fma_f32 v42, v181, v47, -v55
	s_waitcnt lgkmcnt(6)
	v_mul_f32_e32 v43, v85, v29
	v_mul_f32_e32 v45, v85, v28
	s_waitcnt lgkmcnt(5)
	v_mul_f32_e32 v46, v87, v33
	v_mul_f32_e32 v47, v87, v32
	s_waitcnt lgkmcnt(4)
	v_mul_f32_e32 v55, v127, v25
	v_fmac_f32_e32 v43, v84, v28
	v_fma_f32 v28, v84, v29, -v45
	v_fmac_f32_e32 v46, v86, v32
	v_fma_f32 v29, v86, v33, -v47
	v_mul_f32_e32 v32, v81, v31
	v_mul_f32_e32 v33, v81, v30
	;; [unrolled: 1-line block ×4, first 2 shown]
	s_waitcnt lgkmcnt(1)
	v_mul_f32_e32 v63, v91, v15
	v_fmac_f32_e32 v32, v80, v30
	v_fma_f32 v30, v80, v31, -v33
	v_fmac_f32_e32 v45, v82, v34
	v_fma_f32 v31, v82, v35, -v47
	v_mul_f32_e32 v34, v93, v21
	v_mul_f32_e32 v35, v93, v20
	;; [unrolled: 1-line block ×3, first 2 shown]
	v_fmac_f32_e32 v55, v126, v24
	v_mul_f32_e32 v24, v127, v24
	v_fmac_f32_e32 v34, v92, v20
	v_fma_f32 v58, v92, v21, -v35
	s_waitcnt lgkmcnt(0)
	v_mul_f32_e32 v35, v123, v17
	v_mul_f32_e32 v20, v123, v16
	;; [unrolled: 1-line block ×3, first 2 shown]
	v_fmac_f32_e32 v47, v94, v12
	v_mul_f32_e32 v12, v95, v12
	v_mul_f32_e32 v21, v89, v22
	v_fmac_f32_e32 v35, v122, v16
	v_fma_f32 v61, v122, v17, -v20
	v_sub_f32_e32 v16, v8, v54
	v_sub_f32_e32 v17, v9, v40
	;; [unrolled: 1-line block ×3, first 2 shown]
	v_fmac_f32_e32 v63, v90, v14
	v_mul_f32_e32 v14, v91, v14
	v_fma_f32 v24, v126, v25, -v24
	v_mul_f32_e32 v25, v125, v26
	v_fmac_f32_e32 v33, v124, v26
	v_mul_f32_e32 v59, v89, v23
	v_fma_f32 v60, v94, v13, -v12
	v_fma_f32 v62, v88, v23, -v21
	v_sub_f32_e32 v21, v36, v41
	v_fma_f32 v12, v8, 2.0, -v16
	v_fma_f32 v8, v52, 2.0, -v20
	v_fma_f32 v41, v90, v15, -v14
	v_sub_f32_e32 v15, v17, v20
	v_sub_f32_e32 v26, v11, v39
	v_sub_f32_e32 v20, v38, v42
	v_fma_f32 v57, v124, v27, -v25
	v_fmac_f32_e32 v59, v88, v22
	v_fma_f32 v13, v9, 2.0, -v17
	v_fma_f32 v9, v36, 2.0, -v21
	v_mul_f32_e32 v22, v121, v18
	v_fma_f32 v27, v11, 2.0, -v26
	v_fma_f32 v11, v38, 2.0, -v20
	v_sub_f32_e32 v36, v4, v46
	v_sub_f32_e32 v37, v5, v29
	;; [unrolled: 1-line block ×4, first 2 shown]
	v_mul_f32_e32 v40, v121, v19
	v_fma_f32 v52, v120, v19, -v22
	v_sub_f32_e32 v25, v10, v44
	v_sub_f32_e32 v19, v56, v53
	v_fma_f32 v4, v4, 2.0, -v36
	v_fma_f32 v5, v5, 2.0, -v37
	;; [unrolled: 1-line block ×4, first 2 shown]
	v_add_f32_e32 v14, v16, v21
	v_sub_f32_e32 v11, v27, v11
	v_add_f32_e32 v20, v25, v20
	v_sub_f32_e32 v21, v26, v19
	v_sub_f32_e32 v22, v4, v22
	;; [unrolled: 1-line block ×3, first 2 shown]
	v_fmac_f32_e32 v40, v120, v18
	v_fma_f32 v18, v10, 2.0, -v25
	v_fma_f32 v10, v56, 2.0, -v19
	;; [unrolled: 1-line block ×7, first 2 shown]
	v_sub_f32_e32 v4, v6, v45
	v_sub_f32_e32 v5, v32, v33
	v_add_f32_e32 v28, v36, v38
	v_sub_f32_e32 v38, v7, v31
	v_sub_f32_e32 v33, v30, v57
	v_fma_f32 v39, v6, 2.0, -v4
	v_fma_f32 v31, v32, 2.0, -v5
	v_sub_f32_e32 v43, v0, v47
	v_fma_f32 v42, v7, 2.0, -v38
	v_fma_f32 v32, v30, 2.0, -v33
	v_sub_f32_e32 v44, v34, v35
	v_sub_f32_e32 v30, v39, v31
	;; [unrolled: 1-line block ×6, first 2 shown]
	v_fma_f32 v32, v39, 2.0, -v30
	v_fma_f32 v39, v0, 2.0, -v43
	;; [unrolled: 1-line block ×3, first 2 shown]
	v_add_f32_e32 v34, v4, v33
	v_fma_f32 v5, v1, 2.0, -v46
	v_fma_f32 v1, v58, 2.0, -v45
	;; [unrolled: 1-line block ×3, first 2 shown]
	v_sub_f32_e32 v53, v3, v41
	v_fma_f32 v36, v4, 2.0, -v34
	v_sub_f32_e32 v4, v2, v63
	v_sub_f32_e32 v47, v59, v40
	;; [unrolled: 1-line block ×9, first 2 shown]
	v_add_f32_e32 v40, v43, v45
	v_fma_f32 v54, v2, 2.0, -v4
	v_fma_f32 v55, v3, 2.0, -v53
	;; [unrolled: 1-line block ×9, first 2 shown]
	v_sub_f32_e32 v41, v46, v44
	v_add_f32_e32 v44, v4, v52
	v_fma_f32 v7, v37, 2.0, -v29
	v_fma_f32 v37, v38, 2.0, -v35
	v_fma_f32 v38, v39, 2.0, -v0
	v_fma_f32 v39, v5, 2.0, -v1
	v_add_nc_u32_e32 v5, 0x800, v199
	v_fma_f32 v33, v42, 2.0, -v31
	v_fma_f32 v2, v43, 2.0, -v40
	v_sub_f32_e32 v42, v54, v3
	v_sub_f32_e32 v43, v55, v45
	;; [unrolled: 1-line block ×3, first 2 shown]
	v_fma_f32 v52, v4, 2.0, -v44
	ds_write_b64 v199, v[16:17] offset:2704
	ds_write_b64 v199, v[8:9] offset:5408
	;; [unrolled: 1-line block ×3, first 2 shown]
	v_add_nc_u32_e32 v4, 0x2000, v199
	ds_write2_b64 v199, v[12:13], v[18:19] offset1:52
	ds_write_b64 v199, v[10:11] offset:5824
	ds_write2_b64 v5, v[24:25], v[6:7] offset0:134 offset1:186
	v_add_nc_u32_e32 v7, 0x1800, v199
	v_add_nc_u32_e32 v8, 0x400, v199
	v_fma_f32 v3, v46, 2.0, -v41
	v_add_nc_u32_e32 v6, 0xc00, v199
	v_fma_f32 v46, v54, 2.0, -v42
	v_fma_f32 v47, v55, 2.0, -v43
	;; [unrolled: 1-line block ×3, first 2 shown]
	ds_write2_b64 v4, v[20:21], v[28:29] offset0:42 offset1:94
	ds_write2_b64 v199, v[26:27], v[32:33] offset0:104 offset1:156
	;; [unrolled: 1-line block ×3, first 2 shown]
	ds_write_b64 v199, v[34:35] offset:9360
	ds_write2_b64 v6, v[36:37], v[2:3] offset0:110 offset1:162
	ds_write2_b64 v8, v[38:39], v[46:47] offset0:80 offset1:132
	ds_write_b64 v199, v[52:53] offset:4784
	ds_write2_b64 v7, v[0:1], v[42:43] offset0:116 offset1:168
	ds_write2_b64 v4, v[40:41], v[44:45] offset0:198 offset1:250
	s_and_saveexec_b32 s0, vcc_lo
	s_cbranch_execz .LBB0_9
; %bb.8:
	v_mul_f32_e32 v0, v99, v108
	v_mul_f32_e32 v1, v97, v51
	;; [unrolled: 1-line block ×6, first 2 shown]
	v_fma_f32 v0, v98, v109, -v0
	v_fmac_f32_e32 v1, v96, v50
	v_fma_f32 v3, v96, v51, -v3
	v_fma_f32 v6, v104, v107, -v6
	v_fmac_f32_e32 v2, v98, v108
	v_fmac_f32_e32 v9, v104, v106
	v_sub_f32_e32 v10, v49, v0
	v_sub_f32_e32 v0, v3, v6
	;; [unrolled: 1-line block ×4, first 2 shown]
	v_fma_f32 v11, v49, 2.0, -v10
	v_fma_f32 v3, v3, 2.0, -v0
	;; [unrolled: 1-line block ×4, first 2 shown]
	v_sub_f32_e32 v1, v10, v2
	v_add_f32_e32 v0, v6, v0
	v_sub_f32_e32 v3, v11, v3
	v_sub_f32_e32 v2, v13, v9
	v_fma_f32 v10, v10, 2.0, -v1
	v_fma_f32 v9, v6, 2.0, -v0
	;; [unrolled: 1-line block ×4, first 2 shown]
	ds_write_b64 v199, v[9:10] offset:5200
	ds_write_b64 v199, v[2:3] offset:7904
	;; [unrolled: 1-line block ×4, first 2 shown]
.LBB0_9:
	s_or_b32 exec_lo, exec_lo, s0
	v_add_nc_u32_e32 v6, 0x1000, v199
	s_waitcnt lgkmcnt(0)
	s_barrier
	buffer_gl0_inv
	ds_read2_b64 v[9:12], v199 offset1:52
	ds_read2_b64 v[0:3], v6 offset0:112 offset1:164
	s_clause 0x2
	buffer_load_dword v13, off, s[16:19], 0
	buffer_load_dword v14, off, s[16:19], 0 offset:4
	buffer_load_dword v37, off, s[16:19], 0 offset:8
	v_add_nc_u32_e32 v21, 0x1400, v199
	s_mov_b32 s0, 0x7ab2bedd
	s_mov_b32 s1, 0x3f483c97
	s_mul_i32 s3, s5, 0x1520
	s_mul_i32 s2, s4, 0x1520
	s_mul_hi_u32 s9, s4, 0xffffec80
	s_mul_i32 s8, s5, 0xffffec80
	s_waitcnt lgkmcnt(0)
	v_mul_f32_e32 v31, v138, v3
	v_mul_f32_e32 v32, v138, v2
	v_fmac_f32_e32 v31, v137, v2
	v_fma_f32 v3, v137, v3, -v32
	v_cvt_f64_f32_e32 v[31:32], v31
	v_mul_f64 v[31:32], v[31:32], s[0:1]
	s_waitcnt vmcnt(2)
	v_mov_b32_e32 v35, v13
	s_waitcnt vmcnt(1)
	ds_read2_b64 v[13:16], v199 offset0:104 offset1:156
	ds_read2_b64 v[17:20], v7 offset0:64 offset1:116
	s_clause 0x1
	buffer_load_dword v33, off, s[16:19], 0 offset:20
	buffer_load_dword v34, off, s[16:19], 0 offset:24
	ds_read2_b64 v[21:24], v21 offset0:88 offset1:140
	s_clause 0x3
	buffer_load_dword v42, off, s[16:19], 0 offset:28
	buffer_load_dword v43, off, s[16:19], 0 offset:32
	;; [unrolled: 1-line block ×4, first 2 shown]
	v_mad_u64_u32 v[25:26], null, s6, v35, 0
	s_waitcnt vmcnt(6)
	v_mad_u64_u32 v[27:28], null, s4, v37, 0
	s_mul_hi_u32 s6, s4, 0x1520
	s_add_i32 s3, s6, s3
	s_sub_i32 s6, s9, s4
	v_mov_b32_e32 v2, v26
	s_add_i32 s6, s6, s8
	s_waitcnt lgkmcnt(2)
	v_mul_f32_e32 v38, v140, v13
	v_mul_f32_e32 v39, v142, v16
	;; [unrolled: 1-line block ×3, first 2 shown]
	v_fma_f32 v38, v139, v14, -v38
	v_fmac_f32_e32 v39, v141, v15
	v_fma_f32 v40, v141, v16, -v40
	s_waitcnt vmcnt(4)
	v_mul_f32_e32 v29, v34, v10
	v_mul_f32_e32 v30, v34, v9
	s_waitcnt vmcnt(2) lgkmcnt(0)
	v_mul_f32_e32 v41, v43, v22
	v_fmac_f32_e32 v29, v33, v9
	v_fma_f32 v30, v33, v10, -v30
	v_cvt_f64_f32_e32 v[33:34], v3
	v_mov_b32_e32 v3, v28
	v_mul_f32_e32 v28, v201, v11
	v_cvt_f64_f32_e32 v[9:10], v29
	v_cvt_f64_f32_e32 v[29:30], v30
	v_fmac_f32_e32 v41, v42, v21
	v_mad_u64_u32 v[35:36], null, s7, v35, v[2:3]
	v_mad_u64_u32 v[2:3], null, s5, v37, v[3:4]
	v_mul_f32_e32 v3, v201, v12
	v_mul_f32_e32 v37, v140, v14
	v_fma_f32 v28, v200, v12, -v28
	s_mul_i32 s7, s4, 0xffffec80
	v_mov_b32_e32 v26, v35
	v_fmac_f32_e32 v3, v200, v11
	v_fmac_f32_e32 v37, v139, v13
	v_cvt_f64_f32_e32 v[35:36], v28
	v_mov_b32_e32 v28, v2
	v_lshlrev_b64 v[15:16], 3, v[25:26]
	v_cvt_f64_f32_e32 v[11:12], v3
	v_mul_f32_e32 v3, v43, v21
	v_mul_f64 v[33:34], v[33:34], s[0:1]
	v_cvt_f64_f32_e32 v[25:26], v37
	s_waitcnt vmcnt(0)
	v_mul_f32_e32 v43, v46, v23
	v_mul_f64 v[9:10], v[9:10], s[0:1]
	v_mul_f64 v[29:30], v[29:30], s[0:1]
	v_fma_f32 v13, v42, v22, -v3
	v_cvt_f64_f32_e32 v[2:3], v41
	v_lshlrev_b64 v[21:22], 3, v[27:28]
	v_add_co_u32 v41, vcc_lo, s12, v15
	v_cvt_f64_f32_e32 v[13:14], v13
	v_add_co_ci_u32_e32 v44, vcc_lo, s13, v16, vcc_lo
	v_add_co_u32 v15, vcc_lo, v41, v21
	v_cvt_f64_f32_e32 v[27:28], v38
	v_add_co_ci_u32_e32 v16, vcc_lo, v44, v22, vcc_lo
	v_add_co_u32 v21, vcc_lo, v15, s2
	v_mul_f64 v[11:12], v[11:12], s[0:1]
	v_add_co_ci_u32_e32 v22, vcc_lo, s3, v16, vcc_lo
	v_mul_f32_e32 v38, v162, v17
	v_mul_f32_e32 v37, v162, v18
	v_cvt_f32_f64_e32 v9, v[9:10]
	v_cvt_f32_f64_e32 v10, v[29:30]
	;; [unrolled: 1-line block ×4, first 2 shown]
	v_mul_f64 v[31:32], v[35:36], s[0:1]
	v_mul_f64 v[2:3], v[2:3], s[0:1]
	v_fma_f32 v33, v45, v24, -v43
	v_mul_f64 v[13:14], v[13:14], s[0:1]
	v_fma_f32 v18, v161, v18, -v38
	v_mul_f32_e32 v42, v46, v24
	v_fmac_f32_e32 v37, v161, v17
	v_cvt_f64_f32_e32 v[33:34], v33
	global_store_dwordx2 v[15:16], v[9:10], off
	global_store_dwordx2 v[21:22], v[29:30], off
	v_cvt_f32_f64_e32 v35, v[11:12]
	ds_read2_b64 v[8:11], v8 offset0:80 offset1:132
	v_cvt_f32_f64_e32 v36, v[31:32]
	v_cvt_f32_f64_e32 v2, v[2:3]
	;; [unrolled: 1-line block ×3, first 2 shown]
	v_mul_f64 v[12:13], v[25:26], s[0:1]
	v_add_co_u32 v21, vcc_lo, v21, s7
	v_cvt_f64_f32_e32 v[15:16], v39
	v_add_co_ci_u32_e32 v22, vcc_lo, s6, v22, vcc_lo
	v_mul_f64 v[25:26], v[27:28], s[0:1]
	v_add_co_u32 v27, vcc_lo, v21, s2
	v_add_co_ci_u32_e32 v28, vcc_lo, s3, v22, vcc_lo
	v_mul_f64 v[31:32], v[33:34], s[0:1]
	v_cvt_f64_f32_e32 v[33:34], v18
	global_store_dwordx2 v[21:22], v[35:36], off
	global_store_dwordx2 v[27:28], v[2:3], off
	s_waitcnt lgkmcnt(0)
	v_mul_f32_e32 v39, v174, v8
	v_cvt_f32_f64_e32 v2, v[12:13]
	v_fmac_f32_e32 v42, v45, v23
	v_cvt_f64_f32_e32 v[29:30], v40
	v_mul_f64 v[14:15], v[15:16], s[0:1]
	v_fma_f32 v18, v173, v9, -v39
	v_mul_f32_e32 v38, v174, v9
	v_cvt_f64_f32_e32 v[23:24], v42
	v_cvt_f32_f64_e32 v3, v[25:26]
	v_add_co_u32 v21, vcc_lo, v27, s7
	v_cvt_f64_f32_e32 v[12:13], v18
	buffer_load_dword v18, off, s[16:19], 0 offset:36 ; 4-byte Folded Reload
	v_fmac_f32_e32 v38, v173, v8
	v_add_co_ci_u32_e32 v22, vcc_lo, s6, v28, vcc_lo
	v_add_co_u32 v27, vcc_lo, v21, s2
	v_cvt_f64_f32_e32 v[8:9], v38
	v_add_co_ci_u32_e32 v28, vcc_lo, s3, v22, vcc_lo
	v_mul_f64 v[33:34], v[33:34], s[0:1]
	v_mul_f64 v[16:17], v[29:30], s[0:1]
	v_cvt_f64_f32_e32 v[29:30], v37
	v_mul_f64 v[23:24], v[23:24], s[0:1]
	v_mul_f64 v[35:36], v[12:13], s[0:1]
	;; [unrolled: 1-line block ×4, first 2 shown]
	v_cvt_f32_f64_e32 v23, v[23:24]
	v_cvt_f32_f64_e32 v24, v[31:32]
	;; [unrolled: 1-line block ×4, first 2 shown]
	v_mul_f32_e32 v15, v166, v20
	v_mul_f32_e32 v16, v166, v19
	v_fmac_f32_e32 v15, v165, v19
	v_fma_f32 v12, v165, v20, -v16
	v_add_co_u32 v16, vcc_lo, v27, s7
	v_add_co_ci_u32_e32 v17, vcc_lo, s6, v28, vcc_lo
	v_cvt_f64_f32_e32 v[37:38], v15
	v_cvt_f64_f32_e32 v[39:40], v12
	v_cvt_f32_f64_e32 v20, v[29:30]
	s_waitcnt vmcnt(0)
	v_mad_u64_u32 v[25:26], null, s4, v18, 0
	v_mov_b32_e32 v14, v26
	v_mad_u64_u32 v[18:19], null, s5, v18, v[14:15]
	ds_read2_b64 v[12:15], v7 offset0:168 offset1:220
	global_store_dwordx2 v[21:22], v[2:3], off
	global_store_dwordx2 v[27:28], v[23:24], off
	v_mad_u64_u32 v[2:3], null, 0x1a0, s4, v[16:17]
	global_store_dwordx2 v[16:17], v[31:32], off
	v_cvt_f32_f64_e32 v24, v[8:9]
	v_mov_b32_e32 v26, v18
	ds_read2_b64 v[16:19], v5 offset0:56 offset1:108
	v_mul_f32_e32 v9, v176, v11
	v_cvt_f32_f64_e32 v21, v[33:34]
	v_mad_u64_u32 v[7:8], null, 0x1a0, s5, v[3:4]
	v_lshlrev_b64 v[22:23], 3, v[25:26]
	v_mul_f32_e32 v26, v176, v10
	v_fmac_f32_e32 v9, v175, v10
	v_mul_f64 v[28:29], v[39:40], s[0:1]
	v_cvt_f32_f64_e32 v25, v[35:36]
	v_fma_f32 v3, v175, v11, -v26
	v_mul_f64 v[26:27], v[37:38], s[0:1]
	s_waitcnt lgkmcnt(1)
	v_mul_f32_e32 v8, v168, v13
	v_mul_f32_e32 v36, v170, v15
	v_cvt_f64_f32_e32 v[30:31], v9
	v_cvt_f64_f32_e32 v[32:33], v3
	v_mul_f32_e32 v3, v168, v12
	v_fmac_f32_e32 v8, v167, v12
	v_fmac_f32_e32 v36, v169, v14
	s_waitcnt lgkmcnt(0)
	v_mul_f32_e32 v10, v172, v16
	v_mul_f32_e32 v9, v172, v17
	v_fma_f32 v3, v167, v13, -v3
	v_cvt_f64_f32_e32 v[11:12], v8
	v_cvt_f64_f32_e32 v[36:37], v36
	v_fma_f32 v8, v171, v17, -v10
	v_mul_f32_e32 v10, v170, v14
	v_fmac_f32_e32 v9, v171, v16
	v_cvt_f64_f32_e32 v[13:14], v3
	v_mov_b32_e32 v3, v7
	v_cvt_f64_f32_e32 v[34:35], v8
	v_fma_f32 v8, v169, v15, -v10
	v_cvt_f64_f32_e32 v[16:17], v9
	v_add_co_u32 v22, vcc_lo, v41, v22
	v_add_co_ci_u32_e32 v23, vcc_lo, v44, v23, vcc_lo
	v_cvt_f64_f32_e32 v[38:39], v8
	ds_read2_b64 v[7:10], v4 offset0:16 offset1:68
	global_store_dwordx2 v[22:23], v[20:21], off
	global_store_dwordx2 v[2:3], v[24:25], off
	v_cvt_f32_f64_e32 v20, v[26:27]
	v_cvt_f32_f64_e32 v21, v[28:29]
	v_mul_f64 v[24:25], v[32:33], s[0:1]
	v_mul_f64 v[22:23], v[30:31], s[0:1]
	;; [unrolled: 1-line block ×3, first 2 shown]
	v_mul_f32_e32 v11, v160, v19
	v_mul_f32_e32 v12, v160, v18
	v_mul_f64 v[32:33], v[36:37], s[0:1]
	v_add_co_u32 v2, vcc_lo, v2, s2
	v_mul_f64 v[28:29], v[13:14], s[0:1]
	v_mul_f64 v[30:31], v[34:35], s[0:1]
	v_fmac_f32_e32 v11, v159, v18
	v_mul_f64 v[15:16], v[16:17], s[0:1]
	v_fma_f32 v12, v159, v19, -v12
	v_add_co_ci_u32_e32 v3, vcc_lo, s3, v3, vcc_lo
	s_waitcnt lgkmcnt(0)
	v_mul_f32_e32 v36, v164, v8
	v_mul_f32_e32 v13, v164, v7
	v_mul_f64 v[17:18], v[38:39], s[0:1]
	v_cvt_f64_f32_e32 v[34:35], v11
	v_fmac_f32_e32 v36, v163, v7
	v_fma_f32 v37, v163, v8, -v13
	v_cvt_f64_f32_e32 v[7:8], v12
	global_store_dwordx2 v[2:3], v[20:21], off
	ds_read2_b64 v[11:14], v5 offset0:160 offset1:212
	v_cvt_f64_f32_e32 v[19:20], v36
	v_cvt_f64_f32_e32 v[36:37], v37
	v_cvt_f32_f64_e32 v21, v[22:23]
	v_cvt_f32_f64_e32 v22, v[24:25]
	;; [unrolled: 1-line block ×4, first 2 shown]
	v_add_co_u32 v2, vcc_lo, v2, s7
	v_cvt_f32_f64_e32 v15, v[15:16]
	v_cvt_f32_f64_e32 v16, v[30:31]
	;; [unrolled: 1-line block ×3, first 2 shown]
	v_add_co_ci_u32_e32 v3, vcc_lo, s6, v3, vcc_lo
	v_add_co_u32 v25, vcc_lo, v2, s2
	v_cvt_f32_f64_e32 v28, v[17:18]
	v_mul_f64 v[17:18], v[34:35], s[0:1]
	v_add_co_ci_u32_e32 v26, vcc_lo, s3, v3, vcc_lo
	s_waitcnt lgkmcnt(0)
	v_mul_f32_e32 v5, v158, v12
	v_mul_f64 v[7:8], v[7:8], s[0:1]
	v_mul_f32_e32 v31, v158, v11
	v_mul_f64 v[19:20], v[19:20], s[0:1]
	v_mul_f64 v[29:30], v[36:37], s[0:1]
	v_fmac_f32_e32 v5, v157, v11
	v_mul_f32_e32 v35, v156, v10
	v_mul_f32_e32 v36, v156, v9
	v_add_co_u32 v11, vcc_lo, v25, s7
	v_fma_f32 v33, v157, v12, -v31
	v_add_co_ci_u32_e32 v12, vcc_lo, s6, v26, vcc_lo
	v_cvt_f64_f32_e32 v[31:32], v5
	v_fmac_f32_e32 v35, v155, v9
	v_fma_f32 v5, v155, v10, -v36
	v_add_co_u32 v9, vcc_lo, v11, s2
	v_add_co_ci_u32_e32 v10, vcc_lo, s3, v12, vcc_lo
	global_store_dwordx2 v[2:3], v[21:22], off
	global_store_dwordx2 v[25:26], v[23:24], off
	;; [unrolled: 1-line block ×4, first 2 shown]
	v_cvt_f64_f32_e32 v[37:38], v5
	ds_read2_b64 v[2:5], v4 offset0:120 offset1:172
	v_cvt_f32_f64_e32 v11, v[17:18]
	v_cvt_f32_f64_e32 v12, v[7:8]
	v_cvt_f64_f32_e32 v[33:34], v33
	v_cvt_f64_f32_e32 v[35:36], v35
	v_cvt_f32_f64_e32 v15, v[19:20]
	v_cvt_f32_f64_e32 v16, v[29:30]
	v_add_co_u32 v17, vcc_lo, v9, s7
	v_add_co_ci_u32_e32 v18, vcc_lo, s6, v10, vcc_lo
	v_mul_f32_e32 v10, v152, v14
	v_add_co_u32 v23, vcc_lo, v17, s2
	v_mul_f64 v[19:20], v[31:32], s[0:1]
	v_add_co_ci_u32_e32 v24, vcc_lo, s3, v18, vcc_lo
	v_fmac_f32_e32 v10, v151, v13
	v_mul_f32_e32 v13, v152, v13
	ds_read2_b64 v[6:9], v6 offset0:8 offset1:60
	s_waitcnt lgkmcnt(1)
	v_mul_f32_e32 v31, v154, v3
	v_mul_f32_e32 v32, v154, v2
	v_cvt_f64_f32_e32 v[29:30], v10
	v_fma_f32 v10, v151, v14, -v13
	v_mul_f64 v[27:28], v[37:38], s[0:1]
	v_fmac_f32_e32 v31, v153, v2
	v_fma_f32 v13, v153, v3, -v32
	global_store_dwordx2 v[17:18], v[11:12], off
	global_store_dwordx2 v[23:24], v[15:16], off
	v_cvt_f64_f32_e32 v[2:3], v10
	v_add_nc_u32_e32 v10, 0x2400, v199
	v_mul_f64 v[21:22], v[33:34], s[0:1]
	v_mul_f64 v[25:26], v[35:36], s[0:1]
	v_cvt_f64_f32_e32 v[16:17], v13
	v_cvt_f64_f32_e32 v[14:15], v31
	ds_read2_b64 v[10:13], v10 offset0:96 offset1:148
	v_mul_f32_e32 v36, v178, v1
	v_cvt_f32_f64_e32 v18, v[19:20]
	v_add_co_u32 v20, vcc_lo, v23, s7
	s_waitcnt lgkmcnt(1)
	v_mul_f32_e32 v31, v148, v6
	v_mul_f32_e32 v32, v150, v9
	;; [unrolled: 1-line block ×4, first 2 shown]
	v_fmac_f32_e32 v36, v177, v0
	v_fmac_f32_e32 v32, v149, v8
	v_cvt_f32_f64_e32 v23, v[27:28]
	v_mul_f32_e32 v28, v148, v7
	v_fma_f32 v33, v149, v9, -v33
	v_fma_f32 v37, v177, v1, -v37
	v_mul_f64 v[2:3], v[2:3], s[0:1]
	v_cvt_f32_f64_e32 v19, v[21:22]
	v_cvt_f32_f64_e32 v22, v[25:26]
	s_waitcnt lgkmcnt(0)
	v_mul_f32_e32 v34, v144, v11
	v_mul_f64 v[26:27], v[29:30], s[0:1]
	v_fmac_f32_e32 v28, v147, v6
	v_fma_f32 v29, v147, v7, -v31
	v_mul_f32_e32 v30, v146, v5
	v_mul_f32_e32 v31, v146, v4
	v_fmac_f32_e32 v34, v143, v10
	v_mul_f32_e32 v10, v144, v10
	v_mul_f64 v[6:7], v[14:15], s[0:1]
	v_mul_f64 v[14:15], v[16:17], s[0:1]
	v_cvt_f64_f32_e32 v[16:17], v28
	v_cvt_f64_f32_e32 v[28:29], v29
	v_fmac_f32_e32 v30, v145, v4
	v_fma_f32 v31, v145, v5, -v31
	v_mul_f32_e32 v38, v180, v13
	v_mul_f32_e32 v39, v180, v12
	v_fma_f32 v10, v143, v11, -v10
	v_cvt_f64_f32_e32 v[4:5], v30
	v_cvt_f64_f32_e32 v[8:9], v31
	v_fmac_f32_e32 v38, v179, v12
	v_fma_f32 v39, v179, v13, -v39
	v_cvt_f64_f32_e32 v[30:31], v32
	v_cvt_f64_f32_e32 v[32:33], v33
	;; [unrolled: 1-line block ×8, first 2 shown]
	v_add_co_ci_u32_e32 v21, vcc_lo, s6, v24, vcc_lo
	v_add_co_u32 v24, vcc_lo, v20, s2
	v_cvt_f32_f64_e32 v6, v[6:7]
	v_add_co_ci_u32_e32 v25, vcc_lo, s3, v21, vcc_lo
	global_store_dwordx2 v[20:21], v[18:19], off
	global_store_dwordx2 v[24:25], v[22:23], off
	v_cvt_f32_f64_e32 v19, v[2:3]
	v_mul_f64 v[2:3], v[16:17], s[0:1]
	v_mul_f64 v[16:17], v[28:29], s[0:1]
	;; [unrolled: 1-line block ×4, first 2 shown]
	v_add_co_u32 v20, vcc_lo, v24, s7
	v_cvt_f32_f64_e32 v7, v[14:15]
	v_mul_f64 v[14:15], v[30:31], s[0:1]
	v_mul_f64 v[22:23], v[32:33], s[0:1]
	v_add_co_ci_u32_e32 v21, vcc_lo, s6, v25, vcc_lo
	v_mul_f64 v[24:25], v[34:35], s[0:1]
	v_mul_f64 v[0:1], v[0:1], s[0:1]
	;; [unrolled: 1-line block ×4, first 2 shown]
	v_cvt_f32_f64_e32 v18, v[26:27]
	v_mul_f64 v[26:27], v[36:37], s[0:1]
	v_mul_f64 v[28:29], v[38:39], s[0:1]
	v_add_co_u32 v30, vcc_lo, v20, s2
	v_add_co_ci_u32_e32 v31, vcc_lo, s3, v21, vcc_lo
	v_cvt_f32_f64_e32 v2, v[2:3]
	v_cvt_f32_f64_e32 v3, v[16:17]
	v_add_co_u32 v16, vcc_lo, v30, s7
	v_add_co_ci_u32_e32 v17, vcc_lo, s6, v31, vcc_lo
	v_cvt_f32_f64_e32 v4, v[4:5]
	v_cvt_f32_f64_e32 v5, v[8:9]
	;; [unrolled: 4-line block ×3, first 2 shown]
	v_cvt_f32_f64_e32 v22, v[24:25]
	v_cvt_f32_f64_e32 v23, v[0:1]
	v_cvt_f32_f64_e32 v0, v[10:11]
	v_cvt_f32_f64_e32 v1, v[12:13]
	v_cvt_f32_f64_e32 v10, v[26:27]
	v_cvt_f32_f64_e32 v11, v[28:29]
	v_add_co_u32 v12, vcc_lo, v8, s7
	v_add_co_ci_u32_e32 v13, vcc_lo, s6, v9, vcc_lo
	global_store_dwordx2 v[20:21], v[18:19], off
	v_add_co_u32 v18, vcc_lo, v12, s2
	v_add_co_ci_u32_e32 v19, vcc_lo, s3, v13, vcc_lo
	global_store_dwordx2 v[30:31], v[6:7], off
	;; [unrolled: 3-line block ×4, first 2 shown]
	global_store_dwordx2 v[12:13], v[14:15], off
	global_store_dwordx2 v[18:19], v[22:23], off
	;; [unrolled: 1-line block ×4, first 2 shown]
.LBB0_10:
	s_endpgm
	.section	.rodata,"a",@progbits
	.p2align	6, 0x0
	.amdhsa_kernel bluestein_single_back_len1352_dim1_sp_op_CI_CI
		.amdhsa_group_segment_fixed_size 10816
		.amdhsa_private_segment_fixed_size 44
		.amdhsa_kernarg_size 104
		.amdhsa_user_sgpr_count 6
		.amdhsa_user_sgpr_private_segment_buffer 1
		.amdhsa_user_sgpr_dispatch_ptr 0
		.amdhsa_user_sgpr_queue_ptr 0
		.amdhsa_user_sgpr_kernarg_segment_ptr 1
		.amdhsa_user_sgpr_dispatch_id 0
		.amdhsa_user_sgpr_flat_scratch_init 0
		.amdhsa_user_sgpr_private_segment_size 0
		.amdhsa_wavefront_size32 1
		.amdhsa_uses_dynamic_stack 0
		.amdhsa_system_sgpr_private_segment_wavefront_offset 1
		.amdhsa_system_sgpr_workgroup_id_x 1
		.amdhsa_system_sgpr_workgroup_id_y 0
		.amdhsa_system_sgpr_workgroup_id_z 0
		.amdhsa_system_sgpr_workgroup_info 0
		.amdhsa_system_vgpr_workitem_id 0
		.amdhsa_next_free_vgpr 256
		.amdhsa_next_free_sgpr 20
		.amdhsa_reserve_vcc 1
		.amdhsa_reserve_flat_scratch 0
		.amdhsa_float_round_mode_32 0
		.amdhsa_float_round_mode_16_64 0
		.amdhsa_float_denorm_mode_32 3
		.amdhsa_float_denorm_mode_16_64 3
		.amdhsa_dx10_clamp 1
		.amdhsa_ieee_mode 1
		.amdhsa_fp16_overflow 0
		.amdhsa_workgroup_processor_mode 1
		.amdhsa_memory_ordered 1
		.amdhsa_forward_progress 0
		.amdhsa_shared_vgpr_count 0
		.amdhsa_exception_fp_ieee_invalid_op 0
		.amdhsa_exception_fp_denorm_src 0
		.amdhsa_exception_fp_ieee_div_zero 0
		.amdhsa_exception_fp_ieee_overflow 0
		.amdhsa_exception_fp_ieee_underflow 0
		.amdhsa_exception_fp_ieee_inexact 0
		.amdhsa_exception_int_div_zero 0
	.end_amdhsa_kernel
	.text
.Lfunc_end0:
	.size	bluestein_single_back_len1352_dim1_sp_op_CI_CI, .Lfunc_end0-bluestein_single_back_len1352_dim1_sp_op_CI_CI
                                        ; -- End function
	.section	.AMDGPU.csdata,"",@progbits
; Kernel info:
; codeLenInByte = 35364
; NumSgprs: 22
; NumVgprs: 256
; ScratchSize: 44
; MemoryBound: 0
; FloatMode: 240
; IeeeMode: 1
; LDSByteSize: 10816 bytes/workgroup (compile time only)
; SGPRBlocks: 2
; VGPRBlocks: 31
; NumSGPRsForWavesPerEU: 22
; NumVGPRsForWavesPerEU: 256
; Occupancy: 4
; WaveLimiterHint : 1
; COMPUTE_PGM_RSRC2:SCRATCH_EN: 1
; COMPUTE_PGM_RSRC2:USER_SGPR: 6
; COMPUTE_PGM_RSRC2:TRAP_HANDLER: 0
; COMPUTE_PGM_RSRC2:TGID_X_EN: 1
; COMPUTE_PGM_RSRC2:TGID_Y_EN: 0
; COMPUTE_PGM_RSRC2:TGID_Z_EN: 0
; COMPUTE_PGM_RSRC2:TIDIG_COMP_CNT: 0
	.text
	.p2alignl 6, 3214868480
	.fill 48, 4, 3214868480
	.type	__hip_cuid_998f4d17a39e6229,@object ; @__hip_cuid_998f4d17a39e6229
	.section	.bss,"aw",@nobits
	.globl	__hip_cuid_998f4d17a39e6229
__hip_cuid_998f4d17a39e6229:
	.byte	0                               ; 0x0
	.size	__hip_cuid_998f4d17a39e6229, 1

	.ident	"AMD clang version 19.0.0git (https://github.com/RadeonOpenCompute/llvm-project roc-6.4.0 25133 c7fe45cf4b819c5991fe208aaa96edf142730f1d)"
	.section	".note.GNU-stack","",@progbits
	.addrsig
	.addrsig_sym __hip_cuid_998f4d17a39e6229
	.amdgpu_metadata
---
amdhsa.kernels:
  - .args:
      - .actual_access:  read_only
        .address_space:  global
        .offset:         0
        .size:           8
        .value_kind:     global_buffer
      - .actual_access:  read_only
        .address_space:  global
        .offset:         8
        .size:           8
        .value_kind:     global_buffer
      - .actual_access:  read_only
        .address_space:  global
        .offset:         16
        .size:           8
        .value_kind:     global_buffer
      - .actual_access:  read_only
        .address_space:  global
        .offset:         24
        .size:           8
        .value_kind:     global_buffer
      - .actual_access:  read_only
        .address_space:  global
        .offset:         32
        .size:           8
        .value_kind:     global_buffer
      - .offset:         40
        .size:           8
        .value_kind:     by_value
      - .address_space:  global
        .offset:         48
        .size:           8
        .value_kind:     global_buffer
      - .address_space:  global
        .offset:         56
        .size:           8
        .value_kind:     global_buffer
      - .address_space:  global
        .offset:         64
        .size:           8
        .value_kind:     global_buffer
      - .address_space:  global
        .offset:         72
        .size:           8
        .value_kind:     global_buffer
      - .offset:         80
        .size:           4
        .value_kind:     by_value
      - .address_space:  global
        .offset:         88
        .size:           8
        .value_kind:     global_buffer
      - .address_space:  global
        .offset:         96
        .size:           8
        .value_kind:     global_buffer
    .group_segment_fixed_size: 10816
    .kernarg_segment_align: 8
    .kernarg_segment_size: 104
    .language:       OpenCL C
    .language_version:
      - 2
      - 0
    .max_flat_workgroup_size: 52
    .name:           bluestein_single_back_len1352_dim1_sp_op_CI_CI
    .private_segment_fixed_size: 44
    .sgpr_count:     22
    .sgpr_spill_count: 0
    .symbol:         bluestein_single_back_len1352_dim1_sp_op_CI_CI.kd
    .uniform_work_group_size: 1
    .uses_dynamic_stack: false
    .vgpr_count:     256
    .vgpr_spill_count: 10
    .wavefront_size: 32
    .workgroup_processor_mode: 1
amdhsa.target:   amdgcn-amd-amdhsa--gfx1030
amdhsa.version:
  - 1
  - 2
...

	.end_amdgpu_metadata
